;; amdgpu-corpus repo=ROCm/rocFFT kind=compiled arch=gfx1030 opt=O3
	.text
	.amdgcn_target "amdgcn-amd-amdhsa--gfx1030"
	.amdhsa_code_object_version 6
	.protected	bluestein_single_back_len2700_dim1_half_op_CI_CI ; -- Begin function bluestein_single_back_len2700_dim1_half_op_CI_CI
	.globl	bluestein_single_back_len2700_dim1_half_op_CI_CI
	.p2align	8
	.type	bluestein_single_back_len2700_dim1_half_op_CI_CI,@function
bluestein_single_back_len2700_dim1_half_op_CI_CI: ; @bluestein_single_back_len2700_dim1_half_op_CI_CI
; %bb.0:
	s_load_dwordx4 s[12:15], s[4:5], 0x28
	v_mul_u32_u24_e32 v1, 0x2d9, v0
	v_mov_b32_e32 v2, 0
	s_mov_b32 s0, exec_lo
	v_lshrrev_b32_e32 v3, 16, v1
	v_add_nc_u32_e32 v1, s6, v3
	s_waitcnt lgkmcnt(0)
	v_cmpx_gt_u64_e64 s[12:13], v[1:2]
	s_cbranch_execz .LBB0_2
; %bb.1:
	s_clause 0x2
	s_load_dwordx4 s[0:3], s[4:5], 0x0
	s_load_dwordx4 s[8:11], s[4:5], 0x18
	s_load_dwordx2 s[12:13], s[4:5], 0x38
	v_mul_lo_u16 v2, 0x5a, v3
	v_mov_b32_e32 v91, 2
	v_sub_nc_u16 v90, v0, v2
	v_and_b32_e32 v154, 0xffff, v90
	v_lshlrev_b32_e32 v156, 2, v154
	v_add_co_u32 v70, null, 0x5a, v154
	s_waitcnt lgkmcnt(0)
	s_load_dwordx4 s[4:7], s[10:11], 0x0
	s_load_dwordx4 s[8:11], s[8:9], 0x0
	s_clause 0x5
	global_load_dword v155, v156, s[0:1]
	global_load_dword v150, v156, s[0:1] offset:360
	global_load_dword v144, v156, s[0:1] offset:720
	;; [unrolled: 1-line block ×5, first 2 shown]
	v_add_nc_u32_e32 v157, 0xe00, v156
	v_add_nc_u32_e32 v153, 0x1c00, v156
	;; [unrolled: 1-line block ×12, first 2 shown]
	s_waitcnt lgkmcnt(0)
	v_mad_u64_u32 v[48:49], null, s6, v1, 0
	v_add_co_u32 v102, s6, s0, v156
	v_add_co_ci_u32_e64 v103, null, s1, 0, s6
	s_mul_i32 s6, s9, 0xe10
	v_add_nc_u32_e32 v160, 0xc00, v156
	v_mov_b32_e32 v0, v49
	v_add_nc_u32_e32 v149, 0x1e00, v156
	v_add_nc_u32_e32 v140, 0x1200, v156
	;; [unrolled: 1-line block ×4, first 2 shown]
	v_mad_u64_u32 v[2:3], null, s7, v1, v[0:1]
	s_mul_hi_u32 s7, s8, 0xe10
	v_add_co_u32 v76, null, 0xb4, v154
	s_add_i32 s6, s7, s6
	s_mul_i32 s7, s8, 0xe10
	v_add_nc_u32_e32 v184, 0x168, v154
	v_mov_b32_e32 v49, v2
	v_mad_u64_u32 v[2:3], null, s10, v1, 0
	s_mul_hi_u32 s10, s8, 0xffffe548
	v_add_nc_u32_e32 v185, 0x1c2, v154
	s_sub_i32 s10, s10, s8
	v_add_co_u32 v186, null, 0x21c, v154
	v_add_co_u32 v187, null, 0x276, v154
	v_mov_b32_e32 v0, v3
	v_add_co_u32 v188, null, 0x2d0, v154
	v_add_co_u32 v189, null, 0x32a, v154
	v_mad_u64_u32 v[0:1], null, s11, v1, v[0:1]
	v_lshlrev_b32_e32 v219, 3, v154
	s_mul_hi_u32 s1, s4, 0xe10
	v_mov_b32_e32 v3, v0
	v_mad_u64_u32 v[0:1], null, s8, v154, 0
	s_mulk_i32 s8, 0xe548
	v_mad_u64_u32 v[4:5], null, s9, v154, v[1:2]
	v_lshlrev_b64 v[2:3], 2, v[2:3]
	s_mulk_i32 s9, 0xe548
	s_add_i32 s9, s10, s9
	v_add_co_u32 v183, s10, 0x10e, v154
	v_mov_b32_e32 v1, v4
	v_add_co_u32 v2, vcc_lo, s14, v2
	v_add_co_ci_u32_e32 v3, vcc_lo, s15, v3, vcc_lo
	v_lshlrev_b64 v[0:1], 2, v[0:1]
	v_add_co_ci_u32_e64 v71, null, 0, 0, s10
	v_add_co_u32 v0, vcc_lo, v2, v0
	v_add_co_ci_u32_e32 v1, vcc_lo, v3, v1, vcc_lo
	global_load_dword v2, v[0:1], off
	v_add_co_u32 v0, vcc_lo, v0, s7
	v_add_co_ci_u32_e32 v1, vcc_lo, s6, v1, vcc_lo
	s_waitcnt vmcnt(0)
	v_lshrrev_b32_e32 v3, 16, v2
	v_mul_f16_sdwa v4, v155, v3 dst_sel:DWORD dst_unused:UNUSED_PAD src0_sel:WORD_1 src1_sel:DWORD
	v_fmac_f16_e32 v4, v155, v2
	v_mul_f16_sdwa v2, v155, v2 dst_sel:DWORD dst_unused:UNUSED_PAD src0_sel:WORD_1 src1_sel:DWORD
	v_fma_f16 v2, v155, v3, -v2
	v_pack_b32_f16 v6, v4, v2
	v_add_co_u32 v2, vcc_lo, 0x800, v102
	global_load_dword v4, v[0:1], off
	v_add_co_ci_u32_e32 v3, vcc_lo, 0, v103, vcc_lo
	s_clause 0x5
	global_load_dword v152, v[2:3], off offset:1552
	global_load_dword v148, v[2:3], off offset:1912
	;; [unrolled: 1-line block ×6, first 2 shown]
	s_waitcnt vmcnt(6)
	v_lshrrev_b32_e32 v5, 16, v4
	s_waitcnt vmcnt(5)
	v_mul_f16_sdwa v7, v152, v5 dst_sel:DWORD dst_unused:UNUSED_PAD src0_sel:WORD_1 src1_sel:DWORD
	v_fmac_f16_e32 v7, v152, v4
	v_mul_f16_sdwa v4, v152, v4 dst_sel:DWORD dst_unused:UNUSED_PAD src0_sel:WORD_1 src1_sel:DWORD
	v_fma_f16 v4, v152, v5, -v4
	v_pack_b32_f16 v4, v7, v4
	ds_write_b32 v156, v4 offset:3600
	v_add_co_u32 v4, vcc_lo, v0, s7
	v_add_co_ci_u32_e32 v5, vcc_lo, s6, v1, vcc_lo
	v_add_co_u32 v0, vcc_lo, 0x1800, v102
	v_add_co_ci_u32_e32 v1, vcc_lo, 0, v103, vcc_lo
	global_load_dword v7, v[4:5], off
	v_add_co_u32 v4, vcc_lo, v4, s8
	s_clause 0x4
	global_load_dword v151, v[0:1], off offset:1056
	global_load_dword v146, v[0:1], off offset:1416
	;; [unrolled: 1-line block ×5, first 2 shown]
	v_add_co_ci_u32_e32 v5, vcc_lo, s9, v5, vcc_lo
	s_waitcnt vmcnt(5)
	v_lshrrev_b32_e32 v8, 16, v7
	s_waitcnt vmcnt(4)
	v_mul_f16_sdwa v9, v151, v8 dst_sel:DWORD dst_unused:UNUSED_PAD src0_sel:WORD_1 src1_sel:DWORD
	v_fmac_f16_e32 v9, v151, v7
	v_mul_f16_sdwa v7, v151, v7 dst_sel:DWORD dst_unused:UNUSED_PAD src0_sel:WORD_1 src1_sel:DWORD
	v_fma_f16 v7, v151, v8, -v7
	v_pack_b32_f16 v7, v9, v7
	ds_write_b32 v156, v7 offset:7200
	global_load_dword v7, v[4:5], off
	v_add_co_u32 v4, vcc_lo, v4, s7
	v_add_co_ci_u32_e32 v5, vcc_lo, s6, v5, vcc_lo
	s_waitcnt vmcnt(0)
	v_lshrrev_b32_e32 v8, 16, v7
	v_mul_f16_sdwa v9, v150, v8 dst_sel:DWORD dst_unused:UNUSED_PAD src0_sel:WORD_1 src1_sel:DWORD
	v_fmac_f16_e32 v9, v150, v7
	v_mul_f16_sdwa v7, v150, v7 dst_sel:DWORD dst_unused:UNUSED_PAD src0_sel:WORD_1 src1_sel:DWORD
	v_fma_f16 v7, v150, v8, -v7
	v_pack_b32_f16 v7, v9, v7
	ds_write2_b32 v156, v6, v7 offset1:90
	global_load_dword v6, v[4:5], off
	v_add_co_u32 v4, vcc_lo, v4, s7
	v_add_co_ci_u32_e32 v5, vcc_lo, s6, v5, vcc_lo
	s_waitcnt vmcnt(0)
	v_lshrrev_b32_e32 v7, 16, v6
	v_mul_f16_sdwa v8, v148, v7 dst_sel:DWORD dst_unused:UNUSED_PAD src0_sel:WORD_1 src1_sel:DWORD
	v_fmac_f16_e32 v8, v148, v6
	v_mul_f16_sdwa v6, v148, v6 dst_sel:DWORD dst_unused:UNUSED_PAD src0_sel:WORD_1 src1_sel:DWORD
	v_fma_f16 v6, v148, v7, -v6
	v_pack_b32_f16 v8, v8, v6
	global_load_dword v6, v[4:5], off
	v_add_co_u32 v4, vcc_lo, v4, s8
	v_add_co_ci_u32_e32 v5, vcc_lo, s9, v5, vcc_lo
	s_waitcnt vmcnt(0)
	v_lshrrev_b32_e32 v7, 16, v6
	v_mul_f16_sdwa v9, v146, v7 dst_sel:DWORD dst_unused:UNUSED_PAD src0_sel:WORD_1 src1_sel:DWORD
	v_fmac_f16_e32 v9, v146, v6
	v_mul_f16_sdwa v6, v146, v6 dst_sel:DWORD dst_unused:UNUSED_PAD src0_sel:WORD_1 src1_sel:DWORD
	v_fma_f16 v6, v146, v7, -v6
	v_pack_b32_f16 v9, v9, v6
	global_load_dword v6, v[4:5], off
	v_add_co_u32 v4, vcc_lo, v4, s7
	v_add_co_ci_u32_e32 v5, vcc_lo, s6, v5, vcc_lo
	global_load_dword v11, v[4:5], off
	s_waitcnt vmcnt(1)
	v_lshrrev_b32_e32 v7, 16, v6
	v_mul_f16_sdwa v10, v144, v7 dst_sel:DWORD dst_unused:UNUSED_PAD src0_sel:WORD_1 src1_sel:DWORD
	s_waitcnt vmcnt(0)
	v_lshrrev_b32_e32 v12, 16, v11
	v_fmac_f16_e32 v10, v144, v6
	v_mul_f16_sdwa v6, v144, v6 dst_sel:DWORD dst_unused:UNUSED_PAD src0_sel:WORD_1 src1_sel:DWORD
	v_fma_f16 v6, v144, v7, -v6
	v_pack_b32_f16 v10, v10, v6
	v_add_co_u32 v6, vcc_lo, 0x1000, v102
	v_add_co_ci_u32_e32 v7, vcc_lo, 0, v103, vcc_lo
	v_add_co_u32 v4, vcc_lo, v4, s7
	v_add_co_ci_u32_e32 v5, vcc_lo, s6, v5, vcc_lo
	s_clause 0x5
	global_load_dword v143, v[6:7], off offset:224
	global_load_dword v139, v[6:7], off offset:584
	;; [unrolled: 1-line block ×6, first 2 shown]
	s_waitcnt vmcnt(5)
	v_mul_f16_sdwa v13, v143, v12 dst_sel:DWORD dst_unused:UNUSED_PAD src0_sel:WORD_1 src1_sel:DWORD
	v_fmac_f16_e32 v13, v143, v11
	v_mul_f16_sdwa v11, v143, v11 dst_sel:DWORD dst_unused:UNUSED_PAD src0_sel:WORD_1 src1_sel:DWORD
	v_fma_f16 v11, v143, v12, -v11
	v_pack_b32_f16 v11, v13, v11
	ds_write2_b32 v157, v8, v11 offset0:94 offset1:184
	global_load_dword v8, v[4:5], off
	v_add_co_u32 v4, vcc_lo, v4, s8
	v_add_co_ci_u32_e32 v5, vcc_lo, s9, v5, vcc_lo
	s_waitcnt vmcnt(0)
	v_lshrrev_b32_e32 v11, 16, v8
	v_mul_f16_sdwa v12, v142, v11 dst_sel:DWORD dst_unused:UNUSED_PAD src0_sel:WORD_1 src1_sel:DWORD
	v_fmac_f16_e32 v12, v142, v8
	v_mul_f16_sdwa v8, v142, v8 dst_sel:DWORD dst_unused:UNUSED_PAD src0_sel:WORD_1 src1_sel:DWORD
	v_fma_f16 v8, v142, v11, -v8
	v_pack_b32_f16 v8, v12, v8
	ds_write2_b32 v153, v9, v8 offset0:98 offset1:188
	global_load_dword v8, v[4:5], off
	v_add_co_u32 v4, vcc_lo, v4, s7
	v_add_co_ci_u32_e32 v5, vcc_lo, s6, v5, vcc_lo
	s_waitcnt vmcnt(0)
	v_lshrrev_b32_e32 v9, 16, v8
	v_mul_f16_sdwa v11, v141, v9 dst_sel:DWORD dst_unused:UNUSED_PAD src0_sel:WORD_1 src1_sel:DWORD
	v_fmac_f16_e32 v11, v141, v8
	v_mul_f16_sdwa v8, v141, v8 dst_sel:DWORD dst_unused:UNUSED_PAD src0_sel:WORD_1 src1_sel:DWORD
	v_fma_f16 v8, v141, v9, -v8
	v_pack_b32_f16 v8, v11, v8
	ds_write2_b32 v147, v10, v8 offset0:52 offset1:142
	global_load_dword v8, v[4:5], off
	s_waitcnt vmcnt(0)
	v_lshrrev_b32_e32 v9, 16, v8
	v_mul_f16_sdwa v10, v139, v9 dst_sel:DWORD dst_unused:UNUSED_PAD src0_sel:WORD_1 src1_sel:DWORD
	v_fmac_f16_e32 v10, v139, v8
	v_mul_f16_sdwa v8, v139, v8 dst_sel:DWORD dst_unused:UNUSED_PAD src0_sel:WORD_1 src1_sel:DWORD
	v_fma_f16 v8, v139, v9, -v8
	v_pack_b32_f16 v10, v10, v8
	v_add_co_u32 v8, vcc_lo, v4, s7
	v_add_co_ci_u32_e32 v9, vcc_lo, s6, v5, vcc_lo
	v_add_co_u32 v4, vcc_lo, 0x2000, v102
	v_add_co_ci_u32_e32 v5, vcc_lo, 0, v103, vcc_lo
	global_load_dword v11, v[8:9], off
	v_add_co_u32 v8, vcc_lo, v8, s8
	s_clause 0x5
	global_load_dword v138, v[4:5], off offset:88
	global_load_dword v133, v[4:5], off offset:448
	;; [unrolled: 1-line block ×6, first 2 shown]
	v_add_co_ci_u32_e32 v9, vcc_lo, s9, v9, vcc_lo
	s_waitcnt vmcnt(6)
	v_lshrrev_b32_e32 v12, 16, v11
	s_waitcnt vmcnt(5)
	v_mul_f16_sdwa v13, v138, v12 dst_sel:DWORD dst_unused:UNUSED_PAD src0_sel:WORD_1 src1_sel:DWORD
	v_fmac_f16_e32 v13, v138, v11
	v_mul_f16_sdwa v11, v138, v11 dst_sel:DWORD dst_unused:UNUSED_PAD src0_sel:WORD_1 src1_sel:DWORD
	v_fma_f16 v11, v138, v12, -v11
	global_load_dword v12, v[8:9], off
	v_add_co_u32 v8, vcc_lo, v8, s7
	v_add_co_ci_u32_e32 v9, vcc_lo, s6, v9, vcc_lo
	v_pack_b32_f16 v11, v13, v11
	s_waitcnt vmcnt(0)
	v_lshrrev_b32_e32 v13, 16, v12
	v_mul_f16_sdwa v14, v136, v13 dst_sel:DWORD dst_unused:UNUSED_PAD src0_sel:WORD_1 src1_sel:DWORD
	v_fmac_f16_e32 v14, v136, v12
	v_mul_f16_sdwa v12, v136, v12 dst_sel:DWORD dst_unused:UNUSED_PAD src0_sel:WORD_1 src1_sel:DWORD
	v_fma_f16 v12, v136, v13, -v12
	global_load_dword v13, v[8:9], off
	v_add_co_u32 v8, vcc_lo, v8, s7
	v_add_co_ci_u32_e32 v9, vcc_lo, s6, v9, vcc_lo
	v_pack_b32_f16 v12, v14, v12
	s_waitcnt vmcnt(0)
	v_lshrrev_b32_e32 v14, 16, v13
	v_mul_f16_sdwa v15, v135, v14 dst_sel:DWORD dst_unused:UNUSED_PAD src0_sel:WORD_1 src1_sel:DWORD
	v_fmac_f16_e32 v15, v135, v13
	v_mul_f16_sdwa v13, v135, v13 dst_sel:DWORD dst_unused:UNUSED_PAD src0_sel:WORD_1 src1_sel:DWORD
	v_fma_f16 v13, v135, v14, -v13
	v_pack_b32_f16 v13, v15, v13
	ds_write2_b32 v145, v10, v13 offset0:146 offset1:236
	global_load_dword v10, v[8:9], off
	v_add_co_u32 v8, vcc_lo, v8, s8
	v_add_co_ci_u32_e32 v9, vcc_lo, s9, v9, vcc_lo
	s_waitcnt vmcnt(0)
	v_lshrrev_b32_e32 v13, 16, v10
	v_mul_f16_sdwa v14, v133, v13 dst_sel:DWORD dst_unused:UNUSED_PAD src0_sel:WORD_1 src1_sel:DWORD
	v_fmac_f16_e32 v14, v133, v10
	v_mul_f16_sdwa v10, v133, v10 dst_sel:DWORD dst_unused:UNUSED_PAD src0_sel:WORD_1 src1_sel:DWORD
	v_fma_f16 v10, v133, v13, -v10
	v_pack_b32_f16 v10, v14, v10
	ds_write2_b32 v134, v11, v10 offset0:22 offset1:112
	global_load_dword v10, v[8:9], off
	v_add_co_u32 v8, vcc_lo, v8, s7
	v_add_co_ci_u32_e32 v9, vcc_lo, s6, v9, vcc_lo
	;; [unrolled: 11-line block ×3, first 2 shown]
	s_waitcnt vmcnt(0)
	v_lshrrev_b32_e32 v11, 16, v10
	v_mul_f16_sdwa v12, v131, v11 dst_sel:DWORD dst_unused:UNUSED_PAD src0_sel:WORD_1 src1_sel:DWORD
	v_fmac_f16_e32 v12, v131, v10
	v_mul_f16_sdwa v10, v131, v10 dst_sel:DWORD dst_unused:UNUSED_PAD src0_sel:WORD_1 src1_sel:DWORD
	v_fma_f16 v10, v131, v11, -v10
	global_load_dword v11, v[8:9], off
	v_add_co_u32 v8, vcc_lo, v8, s8
	v_add_co_ci_u32_e32 v9, vcc_lo, s9, v9, vcc_lo
	v_pack_b32_f16 v10, v12, v10
	s_waitcnt vmcnt(0)
	v_lshrrev_b32_e32 v12, 16, v11
	v_mul_f16_sdwa v13, v130, v12 dst_sel:DWORD dst_unused:UNUSED_PAD src0_sel:WORD_1 src1_sel:DWORD
	v_fmac_f16_e32 v13, v130, v11
	v_mul_f16_sdwa v11, v130, v11 dst_sel:DWORD dst_unused:UNUSED_PAD src0_sel:WORD_1 src1_sel:DWORD
	v_fma_f16 v11, v130, v12, -v11
	global_load_dword v12, v[8:9], off
	v_add_co_u32 v8, vcc_lo, v8, s7
	v_add_co_ci_u32_e32 v9, vcc_lo, s6, v9, vcc_lo
	v_pack_b32_f16 v11, v13, v11
	;; [unrolled: 10-line block ×3, first 2 shown]
	s_waitcnt vmcnt(0)
	v_lshrrev_b32_e32 v14, 16, v13
	v_mul_f16_sdwa v15, v125, v14 dst_sel:DWORD dst_unused:UNUSED_PAD src0_sel:WORD_1 src1_sel:DWORD
	v_fmac_f16_e32 v15, v125, v13
	v_mul_f16_sdwa v13, v125, v13 dst_sel:DWORD dst_unused:UNUSED_PAD src0_sel:WORD_1 src1_sel:DWORD
	v_fma_f16 v13, v125, v14, -v13
	v_pack_b32_f16 v13, v15, v13
	ds_write2_b32 v127, v10, v13 offset0:70 offset1:160
	global_load_dword v10, v[8:9], off
	v_add_co_u32 v8, vcc_lo, v8, s8
	v_add_co_ci_u32_e32 v9, vcc_lo, s9, v9, vcc_lo
	s_waitcnt vmcnt(0)
	v_lshrrev_b32_e32 v13, 16, v10
	v_mul_f16_sdwa v14, v124, v13 dst_sel:DWORD dst_unused:UNUSED_PAD src0_sel:WORD_1 src1_sel:DWORD
	v_fmac_f16_e32 v14, v124, v10
	v_mul_f16_sdwa v10, v124, v10 dst_sel:DWORD dst_unused:UNUSED_PAD src0_sel:WORD_1 src1_sel:DWORD
	v_fma_f16 v10, v124, v13, -v10
	v_pack_b32_f16 v10, v14, v10
	ds_write2_b32 v158, v11, v10 offset0:74 offset1:164
	global_load_dword v10, v[8:9], off
	v_add_co_u32 v8, vcc_lo, v8, s7
	v_add_co_ci_u32_e32 v9, vcc_lo, s6, v9, vcc_lo
	s_waitcnt vmcnt(0)
	v_lshrrev_b32_e32 v11, 16, v10
	v_mul_f16_sdwa v13, v123, v11 dst_sel:DWORD dst_unused:UNUSED_PAD src0_sel:WORD_1 src1_sel:DWORD
	v_fmac_f16_e32 v13, v123, v10
	v_mul_f16_sdwa v10, v123, v10 dst_sel:DWORD dst_unused:UNUSED_PAD src0_sel:WORD_1 src1_sel:DWORD
	v_fma_f16 v10, v123, v11, -v10
	v_pack_b32_f16 v10, v13, v10
	ds_write2_b32 v129, v12, v10 offset0:28 offset1:118
	global_load_dword v10, v[8:9], off
	s_waitcnt vmcnt(0)
	v_lshrrev_b32_e32 v11, 16, v10
	v_mul_f16_sdwa v7, v122, v10 dst_sel:DWORD dst_unused:UNUSED_PAD src0_sel:WORD_1 src1_sel:DWORD
	v_mul_f16_sdwa v6, v122, v11 dst_sel:DWORD dst_unused:UNUSED_PAD src0_sel:WORD_1 src1_sel:DWORD
	v_fma_f16 v7, v122, v11, -v7
	v_fmac_f16_e32 v6, v122, v10
	v_pack_b32_f16 v10, v6, v7
	v_add_co_u32 v6, vcc_lo, v8, s7
	v_add_co_ci_u32_e32 v7, vcc_lo, s6, v9, vcc_lo
	global_load_dword v8, v[6:7], off
	v_add_co_u32 v6, vcc_lo, v6, s8
	v_add_co_ci_u32_e32 v7, vcc_lo, s9, v7, vcc_lo
	s_waitcnt vmcnt(0)
	v_lshrrev_b32_e32 v9, 16, v8
	v_mul_f16_sdwa v11, v119, v9 dst_sel:DWORD dst_unused:UNUSED_PAD src0_sel:WORD_1 src1_sel:DWORD
	v_fmac_f16_e32 v11, v119, v8
	v_mul_f16_sdwa v8, v119, v8 dst_sel:DWORD dst_unused:UNUSED_PAD src0_sel:WORD_1 src1_sel:DWORD
	v_fma_f16 v8, v119, v9, -v8
	global_load_dword v9, v[6:7], off
	v_add_co_u32 v6, vcc_lo, v6, s7
	v_add_co_ci_u32_e32 v7, vcc_lo, s6, v7, vcc_lo
	v_pack_b32_f16 v8, v11, v8
	s_waitcnt vmcnt(0)
	v_lshrrev_b32_e32 v11, 16, v9
	v_mul_f16_sdwa v12, v117, v11 dst_sel:DWORD dst_unused:UNUSED_PAD src0_sel:WORD_1 src1_sel:DWORD
	v_fmac_f16_e32 v12, v117, v9
	v_mul_f16_sdwa v9, v117, v9 dst_sel:DWORD dst_unused:UNUSED_PAD src0_sel:WORD_1 src1_sel:DWORD
	v_fma_f16 v9, v117, v11, -v9
	global_load_dword v11, v[6:7], off
	v_add_co_u32 v6, vcc_lo, v6, s7
	v_add_co_ci_u32_e32 v7, vcc_lo, s6, v7, vcc_lo
	v_pack_b32_f16 v9, v12, v9
	s_waitcnt vmcnt(0)
	v_lshrrev_b32_e32 v12, 16, v11
	v_mul_f16_sdwa v13, v116, v12 dst_sel:DWORD dst_unused:UNUSED_PAD src0_sel:WORD_1 src1_sel:DWORD
	v_fmac_f16_e32 v13, v116, v11
	v_mul_f16_sdwa v11, v116, v11 dst_sel:DWORD dst_unused:UNUSED_PAD src0_sel:WORD_1 src1_sel:DWORD
	v_fma_f16 v11, v116, v12, -v11
	v_pack_b32_f16 v11, v13, v11
	ds_write2_b32 v159, v10, v11 offset0:122 offset1:212
	global_load_dword v10, v[6:7], off
	s_waitcnt vmcnt(0)
	v_lshrrev_b32_e32 v11, 16, v10
	v_mul_f16_sdwa v5, v115, v10 dst_sel:DWORD dst_unused:UNUSED_PAD src0_sel:WORD_1 src1_sel:DWORD
	v_mul_f16_sdwa v4, v115, v11 dst_sel:DWORD dst_unused:UNUSED_PAD src0_sel:WORD_1 src1_sel:DWORD
	v_fma_f16 v5, v115, v11, -v5
	v_fmac_f16_e32 v4, v115, v10
	v_pack_b32_f16 v4, v4, v5
	ds_write2_b32 v126, v8, v4 offset0:126 offset1:216
	v_add_co_u32 v4, vcc_lo, v6, s8
	v_add_co_ci_u32_e32 v5, vcc_lo, s9, v7, vcc_lo
	global_load_dword v6, v[4:5], off
	s_waitcnt vmcnt(0)
	v_lshrrev_b32_e32 v7, 16, v6
	v_mul_f16_sdwa v3, v114, v6 dst_sel:DWORD dst_unused:UNUSED_PAD src0_sel:WORD_1 src1_sel:DWORD
	v_mul_f16_sdwa v2, v114, v7 dst_sel:DWORD dst_unused:UNUSED_PAD src0_sel:WORD_1 src1_sel:DWORD
	v_fma_f16 v3, v114, v7, -v3
	v_fmac_f16_e32 v2, v114, v6
	v_pack_b32_f16 v2, v2, v3
	ds_write2_b32 v120, v9, v2 offset0:80 offset1:170
	v_add_co_u32 v2, vcc_lo, v4, s7
	v_add_co_ci_u32_e32 v3, vcc_lo, s6, v5, vcc_lo
	global_load_dword v4, v[2:3], off
	s_waitcnt vmcnt(0)
	v_lshrrev_b32_e32 v5, 16, v4
	v_mul_f16_sdwa v1, v113, v4 dst_sel:DWORD dst_unused:UNUSED_PAD src0_sel:WORD_1 src1_sel:DWORD
	v_mul_f16_sdwa v0, v113, v5 dst_sel:DWORD dst_unused:UNUSED_PAD src0_sel:WORD_1 src1_sel:DWORD
	v_fma_f16 v1, v113, v5, -v1
	v_fmac_f16_e32 v0, v113, v4
	v_pack_b32_f16 v0, v0, v1
	ds_write_b32 v156, v0 offset:6840
	v_add_co_u32 v0, vcc_lo, v2, s7
	v_add_co_ci_u32_e32 v1, vcc_lo, s6, v3, vcc_lo
	v_add_co_u32 v60, vcc_lo, 0x2800, v102
	v_add_co_ci_u32_e32 v61, vcc_lo, 0, v103, vcc_lo
	global_load_dword v0, v[0:1], off
	v_cmp_gt_u16_e32 vcc_lo, 30, v90
	s_mul_i32 s6, s4, 0xe10
	global_load_dword v112, v[60:61], off offset:200
	s_waitcnt vmcnt(1)
	v_lshrrev_b32_e32 v1, 16, v0
	s_waitcnt vmcnt(0)
	v_mul_f16_sdwa v2, v112, v1 dst_sel:DWORD dst_unused:UNUSED_PAD src0_sel:WORD_1 src1_sel:DWORD
	v_fmac_f16_e32 v2, v112, v0
	v_mul_f16_sdwa v0, v112, v0 dst_sel:DWORD dst_unused:UNUSED_PAD src0_sel:WORD_1 src1_sel:DWORD
	v_fma_f16 v0, v112, v1, -v0
	v_pack_b32_f16 v0, v2, v0
	ds_write_b32 v156, v0 offset:10440
	s_waitcnt lgkmcnt(0)
	s_barrier
	buffer_gl0_inv
	ds_read2_b32 v[8:9], v156 offset1:90
	ds_read2_b32 v[28:29], v160 offset0:132 offset1:222
	ds_read2_b32 v[30:31], v153 offset0:8 offset1:98
	;; [unrolled: 1-line block ×14, first 2 shown]
	s_waitcnt lgkmcnt(0)
	s_barrier
	buffer_gl0_inv
	v_add_f16_e32 v32, v8, v28
	v_lshrrev_b32_e32 v27, 16, v8
	v_lshrrev_b32_e32 v26, 16, v9
	;; [unrolled: 1-line block ×4, first 2 shown]
	v_add_f16_e32 v50, v32, v30
	v_add_f16_e32 v32, v28, v30
	v_lshrrev_b32_e32 v23, 16, v4
	v_lshrrev_b32_e32 v22, 16, v5
	;; [unrolled: 1-line block ×3, first 2 shown]
	v_sub_f16_sdwa v40, v14, v16 dst_sel:DWORD dst_unused:UNUSED_PAD src0_sel:WORD_1 src1_sel:WORD_1
	v_fma_f16 v51, -0.5, v32, v8
	v_sub_f16_sdwa v8, v28, v30 dst_sel:DWORD dst_unused:UNUSED_PAD src0_sel:WORD_1 src1_sel:WORD_1
	v_lshrrev_b32_e32 v20, 16, v3
	v_sub_f16_sdwa v46, v15, v17 dst_sel:DWORD dst_unused:UNUSED_PAD src0_sel:WORD_1 src1_sel:WORD_1
	v_add_f16_sdwa v52, v15, v17 dst_sel:DWORD dst_unused:UNUSED_PAD src0_sel:WORD_1 src1_sel:WORD_1
	v_lshrrev_b32_e32 v19, 16, v0
	v_fmamk_f16 v53, v8, 0x3aee, v51
	v_fmac_f16_e32 v51, 0xbaee, v8
	v_add_f16_sdwa v8, v27, v28 dst_sel:DWORD dst_unused:UNUSED_PAD src0_sel:DWORD src1_sel:WORD_1
	v_lshrrev_b32_e32 v18, 16, v1
	v_sub_f16_sdwa v58, v11, v13 dst_sel:DWORD dst_unused:UNUSED_PAD src0_sel:WORD_1 src1_sel:WORD_1
	v_add_f16_sdwa v65, v11, v13 dst_sel:DWORD dst_unused:UNUSED_PAD src0_sel:WORD_1 src1_sel:WORD_1
	v_add_f16_sdwa v54, v8, v30 dst_sel:DWORD dst_unused:UNUSED_PAD src0_sel:DWORD src1_sel:WORD_1
	v_add_f16_sdwa v8, v28, v30 dst_sel:DWORD dst_unused:UNUSED_PAD src0_sel:WORD_1 src1_sel:WORD_1
	v_pack_b32_f16 v50, v50, v54
	v_fmac_f16_e32 v27, -0.5, v8
	v_sub_f16_e32 v8, v28, v30
	v_sub_f16_sdwa v28, v44, v55 dst_sel:DWORD dst_unused:UNUSED_PAD src0_sel:WORD_1 src1_sel:WORD_1
	v_fmamk_f16 v57, v8, 0xbaee, v27
	v_fmac_f16_e32 v27, 0x3aee, v8
	v_add_f16_e32 v8, v9, v29
	v_add_f16_e32 v59, v8, v31
	;; [unrolled: 1-line block ×3, first 2 shown]
	v_fmac_f16_e32 v9, -0.5, v8
	v_sub_f16_sdwa v8, v29, v31 dst_sel:DWORD dst_unused:UNUSED_PAD src0_sel:WORD_1 src1_sel:WORD_1
	v_fmamk_f16 v62, v8, 0x3aee, v9
	v_fmac_f16_e32 v9, 0xbaee, v8
	v_add_f16_sdwa v8, v26, v29 dst_sel:DWORD dst_unused:UNUSED_PAD src0_sel:DWORD src1_sel:WORD_1
	v_add_f16_sdwa v63, v8, v31 dst_sel:DWORD dst_unused:UNUSED_PAD src0_sel:DWORD src1_sel:WORD_1
	v_add_f16_sdwa v8, v29, v31 dst_sel:DWORD dst_unused:UNUSED_PAD src0_sel:WORD_1 src1_sel:WORD_1
	v_fmac_f16_e32 v26, -0.5, v8
	v_sub_f16_e32 v8, v29, v31
	v_add_f16_sdwa v31, v44, v55 dst_sel:DWORD dst_unused:UNUSED_PAD src0_sel:WORD_1 src1_sel:WORD_1
	v_fmamk_f16 v64, v8, 0xbaee, v26
	v_fmac_f16_e32 v26, 0x3aee, v8
	v_add_f16_e32 v8, v6, v35
	v_pack_b32_f16 v9, v9, v26
	v_add_f16_e32 v30, v8, v38
	v_add_f16_e32 v8, v35, v38
	v_fma_f16 v29, -0.5, v8, v6
	v_sub_f16_sdwa v6, v35, v38 dst_sel:DWORD dst_unused:UNUSED_PAD src0_sel:WORD_1 src1_sel:WORD_1
	v_add_f16_e32 v8, v44, v55
	v_fmamk_f16 v33, v6, 0x3aee, v29
	v_fmac_f16_e32 v29, 0xbaee, v6
	v_add_f16_sdwa v6, v25, v35 dst_sel:DWORD dst_unused:UNUSED_PAD src0_sel:DWORD src1_sel:WORD_1
	v_add_f16_sdwa v34, v6, v38 dst_sel:DWORD dst_unused:UNUSED_PAD src0_sel:DWORD src1_sel:WORD_1
	v_add_f16_sdwa v6, v35, v38 dst_sel:DWORD dst_unused:UNUSED_PAD src0_sel:WORD_1 src1_sel:WORD_1
	v_fmac_f16_e32 v25, -0.5, v6
	v_sub_f16_e32 v6, v35, v38
	v_add_f16_e32 v35, v45, v56
	v_fmamk_f16 v41, v6, 0xbaee, v25
	v_fmac_f16_e32 v25, 0x3aee, v6
	v_add_f16_e32 v6, v7, v36
	v_add_f16_e32 v38, v6, v39
	;; [unrolled: 1-line block ×3, first 2 shown]
	v_fmac_f16_e32 v7, -0.5, v6
	v_sub_f16_sdwa v6, v36, v39 dst_sel:DWORD dst_unused:UNUSED_PAD src0_sel:WORD_1 src1_sel:WORD_1
	v_fmamk_f16 v42, v6, 0x3aee, v7
	v_fmac_f16_e32 v7, 0xbaee, v6
	v_add_f16_sdwa v6, v24, v36 dst_sel:DWORD dst_unused:UNUSED_PAD src0_sel:DWORD src1_sel:WORD_1
	v_add_f16_sdwa v43, v6, v39 dst_sel:DWORD dst_unused:UNUSED_PAD src0_sel:DWORD src1_sel:WORD_1
	v_add_f16_sdwa v6, v36, v39 dst_sel:DWORD dst_unused:UNUSED_PAD src0_sel:WORD_1 src1_sel:WORD_1
	v_fmac_f16_e32 v24, -0.5, v6
	v_sub_f16_e32 v6, v36, v39
	v_sub_f16_sdwa v36, v45, v56 dst_sel:DWORD dst_unused:UNUSED_PAD src0_sel:WORD_1 src1_sel:WORD_1
	v_add_f16_e32 v39, v14, v16
	v_fmamk_f16 v47, v6, 0xbaee, v24
	v_fmac_f16_e32 v24, 0x3aee, v6
	v_add_f16_e32 v6, v4, v44
	v_fma_f16 v4, -0.5, v8, v4
	v_pack_b32_f16 v7, v7, v24
	v_add_f16_e32 v6, v6, v55
	v_fmamk_f16 v8, v28, 0x3aee, v4
	v_fmac_f16_e32 v4, 0xbaee, v28
	v_add_f16_sdwa v28, v23, v44 dst_sel:DWORD dst_unused:UNUSED_PAD src0_sel:DWORD src1_sel:WORD_1
	v_fmac_f16_e32 v23, -0.5, v31
	v_sub_f16_e32 v31, v44, v55
	v_add_f16_sdwa v28, v28, v55 dst_sel:DWORD dst_unused:UNUSED_PAD src0_sel:DWORD src1_sel:WORD_1
	v_fmamk_f16 v32, v31, 0xbaee, v23
	v_fmac_f16_e32 v23, 0x3aee, v31
	v_add_f16_e32 v31, v5, v45
	v_fmac_f16_e32 v5, -0.5, v35
	v_pack_b32_f16 v6, v6, v28
	v_pack_b32_f16 v4, v4, v23
	v_add_f16_e32 v31, v31, v56
	v_fmamk_f16 v35, v36, 0x3aee, v5
	v_fmac_f16_e32 v5, 0xbaee, v36
	v_add_f16_sdwa v36, v22, v45 dst_sel:DWORD dst_unused:UNUSED_PAD src0_sel:DWORD src1_sel:WORD_1
	v_add_f16_sdwa v37, v36, v56 dst_sel:DWORD dst_unused:UNUSED_PAD src0_sel:DWORD src1_sel:WORD_1
	v_add_f16_sdwa v36, v45, v56 dst_sel:DWORD dst_unused:UNUSED_PAD src0_sel:WORD_1 src1_sel:WORD_1
	v_fmac_f16_e32 v22, -0.5, v36
	v_sub_f16_e32 v36, v45, v56
	v_add_f16_sdwa v45, v14, v16 dst_sel:DWORD dst_unused:UNUSED_PAD src0_sel:WORD_1 src1_sel:WORD_1
	v_add_f16_sdwa v56, v10, v12 dst_sel:DWORD dst_unused:UNUSED_PAD src0_sel:WORD_1 src1_sel:WORD_1
	v_fmamk_f16 v44, v36, 0xbaee, v22
	v_fmac_f16_e32 v22, 0x3aee, v36
	v_add_f16_e32 v36, v2, v14
	v_fma_f16 v2, -0.5, v39, v2
	v_add_f16_e32 v36, v36, v16
	v_fmamk_f16 v39, v40, 0x3aee, v2
	v_fmac_f16_e32 v2, 0xbaee, v40
	v_add_f16_sdwa v40, v21, v14 dst_sel:DWORD dst_unused:UNUSED_PAD src0_sel:DWORD src1_sel:WORD_1
	v_fmac_f16_e32 v21, -0.5, v45
	v_sub_f16_e32 v14, v14, v16
	v_add_f16_e32 v45, v15, v17
	v_add_f16_sdwa v40, v40, v16 dst_sel:DWORD dst_unused:UNUSED_PAD src0_sel:DWORD src1_sel:WORD_1
	v_fmamk_f16 v16, v14, 0xbaee, v21
	v_fmac_f16_e32 v21, 0x3aee, v14
	v_add_f16_e32 v14, v3, v15
	v_fmac_f16_e32 v3, -0.5, v45
	v_pack_b32_f16 v2, v2, v21
	v_add_f16_e32 v14, v14, v17
	v_fmamk_f16 v45, v46, 0x3aee, v3
	v_fmac_f16_e32 v3, 0xbaee, v46
	v_add_f16_sdwa v46, v20, v15 dst_sel:DWORD dst_unused:UNUSED_PAD src0_sel:DWORD src1_sel:WORD_1
	v_fmac_f16_e32 v20, -0.5, v52
	v_sub_f16_e32 v15, v15, v17
	v_sub_f16_sdwa v52, v10, v12 dst_sel:DWORD dst_unused:UNUSED_PAD src0_sel:WORD_1 src1_sel:WORD_1
	v_add_f16_sdwa v46, v46, v17 dst_sel:DWORD dst_unused:UNUSED_PAD src0_sel:DWORD src1_sel:WORD_1
	v_add_f16_e32 v17, v10, v12
	v_fmamk_f16 v55, v15, 0xbaee, v20
	v_fmac_f16_e32 v20, 0x3aee, v15
	v_add_f16_e32 v15, v0, v10
	v_fma_f16 v0, -0.5, v17, v0
	v_add_f16_e32 v15, v15, v12
	v_fmamk_f16 v17, v52, 0x3aee, v0
	v_fmac_f16_e32 v0, 0xbaee, v52
	v_add_f16_sdwa v52, v19, v10 dst_sel:DWORD dst_unused:UNUSED_PAD src0_sel:DWORD src1_sel:WORD_1
	v_fmac_f16_e32 v19, -0.5, v56
	v_sub_f16_e32 v10, v10, v12
	v_add_f16_e32 v56, v11, v13
	v_add_f16_sdwa v52, v52, v12 dst_sel:DWORD dst_unused:UNUSED_PAD src0_sel:DWORD src1_sel:WORD_1
	v_fmamk_f16 v12, v10, 0xbaee, v19
	v_fmac_f16_e32 v19, 0x3aee, v10
	v_add_f16_e32 v10, v1, v11
	v_fmac_f16_e32 v1, -0.5, v56
	v_pack_b32_f16 v0, v0, v19
	v_add_f16_e32 v10, v10, v13
	v_fmamk_f16 v56, v58, 0x3aee, v1
	v_fmac_f16_e32 v1, 0xbaee, v58
	v_add_f16_sdwa v58, v18, v11 dst_sel:DWORD dst_unused:UNUSED_PAD src0_sel:DWORD src1_sel:WORD_1
	v_fmac_f16_e32 v18, -0.5, v65
	v_add_f16_sdwa v58, v58, v13 dst_sel:DWORD dst_unused:UNUSED_PAD src0_sel:DWORD src1_sel:WORD_1
	v_sub_f16_e32 v13, v11, v13
	v_fmamk_f16 v11, v13, 0xbaee, v18
	v_fmac_f16_e32 v18, 0x3aee, v13
	v_mul_lo_u16 v13, v90, 3
	v_lshlrev_b32_sdwa v104, v91, v13 dst_sel:DWORD dst_unused:UNUSED_PAD src0_sel:DWORD src1_sel:WORD_0
	v_pack_b32_f16 v13, v53, v57
	ds_write2_b32 v104, v50, v13 offset1:1
	v_pack_b32_f16 v13, v51, v27
	v_pack_b32_f16 v27, v59, v63
	ds_write_b32 v104, v13 offset:8
	v_mul_u32_u24_e32 v13, 3, v70
	v_lshlrev_b32_e32 v105, 2, v13
	v_pack_b32_f16 v13, v62, v64
	ds_write_b32 v105, v9 offset:8
	v_mul_u32_u24_e32 v9, 3, v76
	ds_write2_b32 v105, v27, v13 offset1:1
	v_pack_b32_f16 v13, v30, v34
	v_lshlrev_b32_e32 v106, 2, v9
	v_pack_b32_f16 v9, v33, v41
	ds_write2_b32 v106, v13, v9 offset1:1
	v_pack_b32_f16 v9, v29, v25
	v_pack_b32_f16 v13, v38, v43
	ds_write_b32 v106, v9 offset:8
	v_mul_u32_u24_e32 v9, 3, v183
	v_lshlrev_b32_e32 v108, 2, v9
	v_pack_b32_f16 v9, v42, v47
	ds_write_b32 v108, v7 offset:8
	v_mul_u32_u24_e32 v7, 3, v184
	ds_write2_b32 v108, v13, v9 offset1:1
	v_lshlrev_b32_e32 v109, 2, v7
	v_pack_b32_f16 v7, v8, v32
	ds_write_b32 v109, v4 offset:8
	v_mul_u32_u24_e32 v4, 3, v185
	ds_write2_b32 v109, v6, v7 offset1:1
	v_pack_b32_f16 v6, v31, v37
	v_lshlrev_b32_e32 v110, 2, v4
	v_pack_b32_f16 v4, v35, v44
	v_and_b32_e32 v44, 0xff, v90
	ds_write2_b32 v110, v6, v4 offset1:1
	v_pack_b32_f16 v4, v5, v22
	v_pack_b32_f16 v5, v36, v40
	ds_write_b32 v110, v4 offset:8
	v_mul_u32_u24_e32 v4, 3, v186
	v_lshlrev_b32_e32 v111, 2, v4
	v_pack_b32_f16 v4, v39, v16
	ds_write_b32 v111, v2 offset:8
	v_mul_u32_u24_e32 v2, 3, v187
	ds_write2_b32 v111, v5, v4 offset1:1
	v_pack_b32_f16 v4, v14, v46
	v_lshlrev_b32_e32 v167, 2, v2
	v_pack_b32_f16 v2, v45, v55
	ds_write2_b32 v167, v4, v2 offset1:1
	v_pack_b32_f16 v2, v3, v20
	v_pack_b32_f16 v3, v15, v52
	ds_write_b32 v167, v2 offset:8
	v_mul_u32_u24_e32 v2, 3, v188
	v_lshlrev_b32_e32 v168, 2, v2
	v_pack_b32_f16 v2, v17, v12
	ds_write_b32 v168, v0 offset:8
	v_mul_u32_u24_e32 v0, 3, v189
	ds_write2_b32 v168, v3, v2 offset1:1
	v_pack_b32_f16 v2, v10, v58
	v_lshlrev_b32_e32 v107, 2, v0
	v_pack_b32_f16 v0, v56, v11
	ds_write2_b32 v107, v2, v0 offset1:1
	v_pack_b32_f16 v0, v1, v18
	ds_write_b32 v107, v0 offset:8
	v_mul_lo_u16 v0, 0xab, v44
	s_waitcnt lgkmcnt(0)
	s_barrier
	buffer_gl0_inv
	ds_read2_b32 v[24:25], v147 offset0:52 offset1:142
	v_lshrrev_b16 v42, 9, v0
	ds_read2_b32 v[3:4], v129 offset0:28 offset1:118
	ds_read2_b32 v[18:19], v120 offset0:80 offset1:170
	ds_read2_b32 v[5:6], v145 offset0:56 offset1:146
	ds_read2_b32 v[16:17], v140 offset0:108 offset1:198
	v_mul_lo_u16 v0, v42, 3
	ds_read2_b32 v[20:21], v121 offset0:84 offset1:174
	ds_read2_b32 v[30:31], v126 offset0:36 offset1:126
	;; [unrolled: 1-line block ×4, first 2 shown]
	v_sub_nc_u16 v0, v90, v0
	ds_read2_b32 v[40:41], v137 offset0:104 offset1:194
	ds_read2_b32 v[38:39], v160 offset0:132 offset1:222
	;; [unrolled: 1-line block ×4, first 2 shown]
	v_and_b32_e32 v43, 0xff, v0
	ds_read2_b32 v[28:29], v118 offset0:88 offset1:178
	ds_read2_b32 v[26:27], v156 offset1:90
	s_waitcnt lgkmcnt(14)
	v_lshrrev_b32_e32 v2, 16, v25
	v_mad_u64_u32 v[0:1], null, v43, 36, s[2:3]
	s_waitcnt lgkmcnt(13)
	v_lshrrev_b32_e32 v7, 16, v3
	s_waitcnt lgkmcnt(12)
	v_lshrrev_b32_e32 v12, 16, v19
	;; [unrolled: 2-line block ×6, first 2 shown]
	s_clause 0x1
	global_load_dwordx4 v[8:11], v[0:1], off
	global_load_dword v162, v[0:1], off offset:32
	s_waitcnt lgkmcnt(7)
	v_lshrrev_b32_e32 v50, 16, v33
	s_waitcnt lgkmcnt(6)
	v_lshrrev_b32_e32 v51, 16, v22
	;; [unrolled: 2-line block ×3, first 2 shown]
	v_lshrrev_b32_e32 v58, 16, v4
	s_waitcnt lgkmcnt(4)
	v_lshrrev_b32_e32 v81, 16, v38
	v_lshrrev_b32_e32 v82, 16, v6
	s_waitcnt lgkmcnt(3)
	v_lshrrev_b32_e32 v92, 16, v36
	;; [unrolled: 3-line block ×4, first 2 shown]
	v_lshrrev_b32_e32 v86, 16, v41
	v_lshrrev_b32_e32 v83, 16, v18
	;; [unrolled: 1-line block ×9, first 2 shown]
	s_waitcnt lgkmcnt(0)
	v_lshrrev_b32_e32 v45, 16, v26
	v_lshrrev_b32_e32 v93, 16, v27
	;; [unrolled: 1-line block ×3, first 2 shown]
	s_waitcnt vmcnt(1)
	v_mul_f16_sdwa v55, v25, v8 dst_sel:DWORD dst_unused:UNUSED_PAD src0_sel:DWORD src1_sel:WORD_1
	v_mul_f16_sdwa v14, v2, v8 dst_sel:DWORD dst_unused:UNUSED_PAD src0_sel:DWORD src1_sel:WORD_1
	;; [unrolled: 1-line block ×4, first 2 shown]
	s_waitcnt vmcnt(0)
	v_mul_f16_sdwa v64, v31, v162 dst_sel:DWORD dst_unused:UNUSED_PAD src0_sel:DWORD src1_sel:WORD_1
	v_fmac_f16_e32 v55, v2, v8
	v_mul_f16_sdwa v2, v7, v9 dst_sel:DWORD dst_unused:UNUSED_PAD src0_sel:DWORD src1_sel:WORD_1
	v_fma_f16 v54, v25, v8, -v14
	v_fmac_f16_e32 v56, v12, v10
	v_fmac_f16_e32 v69, v13, v11
	v_and_b32_e32 v25, 0xff, v70
	v_fma_f16 v72, v3, v9, -v2
	v_mul_f16_sdwa v2, v12, v10 dst_sel:DWORD dst_unused:UNUSED_PAD src0_sel:DWORD src1_sel:WORD_1
	v_mul_f16_sdwa v68, v3, v9 dst_sel:DWORD dst_unused:UNUSED_PAD src0_sel:DWORD src1_sel:WORD_1
	v_fmac_f16_e32 v64, v52, v162
	v_fma_f16 v59, v19, v10, -v2
	v_mul_f16_sdwa v2, v13, v11 dst_sel:DWORD dst_unused:UNUSED_PAD src0_sel:DWORD src1_sel:WORD_1
	global_load_dwordx4 v[12:15], v[0:1], off offset:16
	v_mul_f16_sdwa v0, v52, v162 dst_sel:DWORD dst_unused:UNUSED_PAD src0_sel:DWORD src1_sel:WORD_1
	v_fmac_f16_e32 v68, v7, v9
	v_fma_f16 v74, v5, v11, -v2
	v_fma_f16 v67, v31, v162, -v0
	v_mul_lo_u16 v0, 0xab, v25
	s_waitcnt vmcnt(0)
	v_mul_f16_sdwa v2, v46, v12 dst_sel:DWORD dst_unused:UNUSED_PAD src0_sel:DWORD src1_sel:WORD_1
	v_mul_f16_sdwa v62, v33, v14 dst_sel:DWORD dst_unused:UNUSED_PAD src0_sel:DWORD src1_sel:WORD_1
	;; [unrolled: 1-line block ×5, first 2 shown]
	v_fma_f16 v63, v17, v12, -v2
	v_mul_f16_sdwa v2, v47, v13 dst_sel:DWORD dst_unused:UNUSED_PAD src0_sel:DWORD src1_sel:WORD_1
	v_fmac_f16_e32 v73, v47, v13
	v_fmac_f16_e32 v57, v46, v12
	;; [unrolled: 1-line block ×4, first 2 shown]
	v_fma_f16 v77, v20, v13, -v2
	v_mul_f16_sdwa v2, v50, v14 dst_sel:DWORD dst_unused:UNUSED_PAD src0_sel:DWORD src1_sel:WORD_1
	v_fma_f16 v65, v33, v14, -v2
	v_lshrrev_b16 v33, 9, v0
	v_mul_f16_sdwa v2, v51, v15 dst_sel:DWORD dst_unused:UNUSED_PAD src0_sel:DWORD src1_sel:WORD_1
	v_mul_lo_u16 v0, v33, 3
	v_fma_f16 v79, v22, v15, -v2
	v_sub_nc_u16 v0, v70, v0
	v_and_b32_e32 v31, 0xff, v0
	v_mad_u64_u32 v[19:20], null, v31, 36, s[2:3]
	s_clause 0x1
	global_load_dwordx4 v[0:3], v[19:20], off
	global_load_dword v161, v[19:20], off offset:32
	s_waitcnt vmcnt(1)
	v_mul_f16_sdwa v5, v53, v0 dst_sel:DWORD dst_unused:UNUSED_PAD src0_sel:DWORD src1_sel:WORD_1
	v_mul_f16_sdwa v164, v4, v1 dst_sel:DWORD dst_unused:UNUSED_PAD src0_sel:DWORD src1_sel:WORD_1
	;; [unrolled: 1-line block ×3, first 2 shown]
	s_waitcnt vmcnt(0)
	v_mul_f16_sdwa v52, v28, v161 dst_sel:DWORD dst_unused:UNUSED_PAD src0_sel:DWORD src1_sel:WORD_1
	v_fma_f16 v47, v40, v0, -v5
	v_mul_f16_sdwa v5, v58, v1 dst_sel:DWORD dst_unused:UNUSED_PAD src0_sel:DWORD src1_sel:WORD_1
	v_mul_f16_sdwa v40, v40, v0 dst_sel:DWORD dst_unused:UNUSED_PAD src0_sel:DWORD src1_sel:WORD_1
	v_fmac_f16_e32 v164, v58, v1
	v_fmac_f16_e32 v165, v82, v3
	;; [unrolled: 1-line block ×3, first 2 shown]
	v_fma_f16 v166, v4, v1, -v5
	v_mul_f16_sdwa v4, v81, v2 dst_sel:DWORD dst_unused:UNUSED_PAD src0_sel:DWORD src1_sel:WORD_1
	v_fmac_f16_e32 v40, v53, v0
	v_fma_f16 v46, v38, v2, -v4
	v_mul_f16_sdwa v4, v82, v3 dst_sel:DWORD dst_unused:UNUSED_PAD src0_sel:DWORD src1_sel:WORD_1
	v_mul_f16_sdwa v38, v38, v2 dst_sel:DWORD dst_unused:UNUSED_PAD src0_sel:DWORD src1_sel:WORD_1
	v_fma_f16 v170, v6, v3, -v4
	global_load_dwordx4 v[4:7], v[19:20], off offset:16
	v_fmac_f16_e32 v38, v81, v2
	s_waitcnt vmcnt(0)
	v_mul_f16_sdwa v17, v92, v4 dst_sel:DWORD dst_unused:UNUSED_PAD src0_sel:DWORD src1_sel:WORD_1
	v_mul_f16_sdwa v50, v34, v6 dst_sel:DWORD dst_unused:UNUSED_PAD src0_sel:DWORD src1_sel:WORD_1
	;; [unrolled: 1-line block ×4, first 2 shown]
	v_fma_f16 v51, v36, v4, -v17
	v_mul_f16_sdwa v17, v94, v5 dst_sel:DWORD dst_unused:UNUSED_PAD src0_sel:DWORD src1_sel:WORD_1
	v_fmac_f16_e32 v169, v94, v5
	v_fmac_f16_e32 v171, v96, v7
	;; [unrolled: 1-line block ×3, first 2 shown]
	v_mul_f16_sdwa v36, v36, v4 dst_sel:DWORD dst_unused:UNUSED_PAD src0_sel:DWORD src1_sel:WORD_1
	v_fma_f16 v172, v21, v5, -v17
	v_mul_f16_sdwa v17, v95, v6 dst_sel:DWORD dst_unused:UNUSED_PAD src0_sel:DWORD src1_sel:WORD_1
	v_fmac_f16_e32 v36, v92, v4
	v_fma_f16 v53, v34, v6, -v17
	v_mul_f16_sdwa v17, v96, v7 dst_sel:DWORD dst_unused:UNUSED_PAD src0_sel:DWORD src1_sel:WORD_1
	v_fma_f16 v173, v23, v7, -v17
	v_mul_f16_sdwa v17, v97, v161 dst_sel:DWORD dst_unused:UNUSED_PAD src0_sel:DWORD src1_sel:WORD_1
	v_fma_f16 v58, v28, v161, -v17
	v_mov_b32_e32 v17, 0xaaab
	v_mul_u32_u24_sdwa v17, v76, v17 dst_sel:DWORD dst_unused:UNUSED_PAD src0_sel:WORD_0 src1_sel:DWORD
	v_lshrrev_b32_e32 v28, 17, v17
	v_mul_lo_u16 v17, v28, 3
	v_sub_nc_u16 v34, v76, v17
	v_mul_lo_u16 v17, v34, 36
	v_and_b32_e32 v17, 0xffff, v17
	v_add_co_u32 v174, s0, s2, v17
	v_add_co_ci_u32_e64 v175, null, s3, 0, s0
	s_clause 0x1
	global_load_dwordx4 v[20:23], v[174:175], off
	global_load_dword v163, v[174:175], off offset:32
	s_waitcnt vmcnt(1)
	v_mul_f16_sdwa v17, v86, v20 dst_sel:DWORD dst_unused:UNUSED_PAD src0_sel:DWORD src1_sel:WORD_1
	v_mul_f16_sdwa v82, v41, v20 dst_sel:DWORD dst_unused:UNUSED_PAD src0_sel:DWORD src1_sel:WORD_1
	;; [unrolled: 1-line block ×4, first 2 shown]
	v_fma_f16 v81, v41, v20, -v17
	v_mul_f16_sdwa v17, v83, v21 dst_sel:DWORD dst_unused:UNUSED_PAD src0_sel:DWORD src1_sel:WORD_1
	v_fmac_f16_e32 v82, v86, v20
	v_fmac_f16_e32 v94, v83, v21
	v_mul_f16_sdwa v83, v39, v22 dst_sel:DWORD dst_unused:UNUSED_PAD src0_sel:DWORD src1_sel:WORD_1
	v_fmac_f16_e32 v95, v84, v23
	v_fma_f16 v96, v18, v21, -v17
	v_mul_f16_sdwa v17, v87, v22 dst_sel:DWORD dst_unused:UNUSED_PAD src0_sel:DWORD src1_sel:WORD_1
	v_sub_f16_e32 v41, v79, v77
	v_fmac_f16_e32 v83, v87, v22
	v_fma_f16 v86, v39, v22, -v17
	v_mul_f16_sdwa v17, v84, v23 dst_sel:DWORD dst_unused:UNUSED_PAD src0_sel:DWORD src1_sel:WORD_1
	v_fma_f16 v98, v16, v23, -v17
	global_load_dwordx4 v[16:19], v[174:175], off offset:16
	s_waitcnt vmcnt(0)
	s_barrier
	buffer_gl0_inv
	v_mul_f16_sdwa v39, v88, v16 dst_sel:DWORD dst_unused:UNUSED_PAD src0_sel:DWORD src1_sel:WORD_1
	v_mul_f16_sdwa v84, v37, v16 dst_sel:DWORD dst_unused:UNUSED_PAD src0_sel:DWORD src1_sel:WORD_1
	;; [unrolled: 1-line block ×4, first 2 shown]
	v_fma_f16 v87, v37, v16, -v39
	v_mul_f16_sdwa v37, v85, v17 dst_sel:DWORD dst_unused:UNUSED_PAD src0_sel:DWORD src1_sel:WORD_1
	v_fmac_f16_e32 v84, v88, v16
	v_fmac_f16_e32 v97, v85, v17
	v_mul_f16_sdwa v85, v35, v18 dst_sel:DWORD dst_unused:UNUSED_PAD src0_sel:DWORD src1_sel:WORD_1
	v_sub_f16_e32 v39, v72, v74
	v_fma_f16 v100, v32, v17, -v37
	v_mul_f16_sdwa v32, v89, v18 dst_sel:DWORD dst_unused:UNUSED_PAD src0_sel:DWORD src1_sel:WORD_1
	v_sub_f16_e32 v37, v69, v73
	v_fmac_f16_e32 v85, v89, v18
	v_add_f16_e32 v39, v39, v41
	v_mul_f16_sdwa v89, v29, v163 dst_sel:DWORD dst_unused:UNUSED_PAD src0_sel:DWORD src1_sel:WORD_1
	v_fma_f16 v88, v35, v18, -v32
	v_mul_f16_sdwa v32, v80, v19 dst_sel:DWORD dst_unused:UNUSED_PAD src0_sel:DWORD src1_sel:WORD_1
	v_sub_f16_e32 v41, v74, v72
	v_fmac_f16_e32 v99, v80, v19
	v_fmac_f16_e32 v89, v78, v163
	v_fma_f16 v101, v30, v19, -v32
	v_mul_f16_sdwa v30, v78, v163 dst_sel:DWORD dst_unused:UNUSED_PAD src0_sel:DWORD src1_sel:WORD_1
	v_sub_f16_e32 v32, v68, v75
	v_sub_f16_e32 v78, v77, v79
	v_fma_f16 v92, v29, v163, -v30
	v_add_f16_e32 v30, v74, v77
	v_add_f16_e32 v29, v26, v72
	;; [unrolled: 1-line block ×3, first 2 shown]
	v_fma_f16 v30, -0.5, v30, v26
	v_add_f16_e32 v29, v29, v74
	v_fmamk_f16 v35, v32, 0x3b9c, v30
	v_fmac_f16_e32 v30, 0xbb9c, v32
	v_add_f16_e32 v29, v29, v77
	v_fmac_f16_e32 v35, 0x38b4, v37
	v_fmac_f16_e32 v30, 0xb8b4, v37
	v_add_f16_e32 v29, v29, v79
	v_fmac_f16_e32 v35, 0x34f2, v39
	v_fmac_f16_e32 v30, 0x34f2, v39
	v_add_f16_e32 v39, v72, v79
	v_fma_f16 v26, -0.5, v39, v26
	v_fmamk_f16 v39, v37, 0xbb9c, v26
	v_fmac_f16_e32 v26, 0x3b9c, v37
	v_add_f16_e32 v37, v69, v73
	v_fmac_f16_e32 v39, 0x38b4, v32
	v_fmac_f16_e32 v26, 0xb8b4, v32
	v_fma_f16 v37, -0.5, v37, v45
	v_add_f16_e32 v32, v45, v68
	v_fmac_f16_e32 v39, 0x34f2, v41
	v_fmac_f16_e32 v26, 0x34f2, v41
	v_sub_f16_e32 v41, v72, v79
	v_sub_f16_e32 v72, v74, v77
	;; [unrolled: 1-line block ×4, first 2 shown]
	v_add_f16_e32 v32, v32, v69
	v_fmamk_f16 v174, v41, 0xbb9c, v37
	v_fmac_f16_e32 v37, 0x3b9c, v41
	v_add_f16_e32 v74, v74, v77
	v_add_f16_e32 v32, v32, v73
	v_fmac_f16_e32 v174, 0xb8b4, v72
	v_fmac_f16_e32 v37, 0x38b4, v72
	v_sub_f16_e32 v77, v65, v67
	v_add_f16_e32 v32, v32, v75
	v_fmac_f16_e32 v174, 0x34f2, v74
	v_fmac_f16_e32 v37, 0x34f2, v74
	v_add_f16_e32 v74, v68, v75
	v_sub_f16_e32 v68, v69, v68
	v_sub_f16_e32 v69, v73, v75
	;; [unrolled: 1-line block ×4, first 2 shown]
	v_fmac_f16_e32 v45, -0.5, v74
	v_add_f16_e32 v68, v68, v69
	v_sub_f16_e32 v69, v56, v64
	v_add_f16_e32 v73, v73, v75
	v_fmamk_f16 v175, v72, 0x3b9c, v45
	v_fmac_f16_e32 v45, 0xbb9c, v72
	v_sub_f16_e32 v72, v57, v62
	v_fmac_f16_e32 v175, 0xb8b4, v41
	v_fmac_f16_e32 v45, 0x38b4, v41
	v_add_f16_e32 v41, v54, v59
	v_fmac_f16_e32 v175, 0x34f2, v68
	v_fmac_f16_e32 v45, 0x34f2, v68
	v_add_f16_e32 v68, v63, v65
	v_add_f16_e32 v41, v41, v63
	v_fma_f16 v68, -0.5, v68, v54
	v_add_f16_e32 v41, v41, v65
	v_fmamk_f16 v74, v69, 0x3b9c, v68
	v_fmac_f16_e32 v68, 0xbb9c, v69
	v_add_f16_e32 v41, v41, v67
	v_fmac_f16_e32 v74, 0x38b4, v72
	v_fmac_f16_e32 v68, 0xb8b4, v72
	v_add_f16_e32 v79, v29, v41
	v_fmac_f16_e32 v74, 0x34f2, v73
	v_fmac_f16_e32 v68, 0x34f2, v73
	v_add_f16_e32 v73, v59, v67
	v_mul_f16_e32 v178, 0xb8b4, v74
	v_mul_f16_e32 v177, 0xba79, v68
	v_fmac_f16_e32 v54, -0.5, v73
	v_sub_f16_e32 v73, v63, v59
	v_sub_f16_e32 v59, v59, v67
	;; [unrolled: 1-line block ×4, first 2 shown]
	v_fmamk_f16 v75, v72, 0xbb9c, v54
	v_fmac_f16_e32 v54, 0x3b9c, v72
	v_add_f16_e32 v72, v57, v62
	v_add_f16_e32 v73, v73, v77
	v_fmac_f16_e32 v75, 0x38b4, v69
	v_fmac_f16_e32 v54, 0xb8b4, v69
	v_fma_f16 v176, -0.5, v72, v55
	v_sub_f16_e32 v72, v64, v62
	v_add_f16_e32 v69, v55, v56
	v_fmac_f16_e32 v75, 0x34f2, v73
	v_fmac_f16_e32 v54, 0x34f2, v73
	v_fmamk_f16 v67, v59, 0xbb9c, v176
	v_fmac_f16_e32 v176, 0x3b9c, v59
	v_add_f16_e32 v65, v65, v72
	v_add_f16_e32 v69, v69, v57
	v_mul_f16_e32 v179, 0xbb9c, v75
	v_fmac_f16_e32 v67, 0xb8b4, v63
	v_fmac_f16_e32 v176, 0x38b4, v63
	v_add_f16_e32 v69, v69, v62
	v_fmac_f16_e32 v67, 0x34f2, v65
	v_fmac_f16_e32 v176, 0x34f2, v65
	v_add_f16_e32 v65, v56, v64
	v_sub_f16_e32 v56, v57, v56
	v_sub_f16_e32 v57, v62, v64
	v_add_f16_e32 v69, v69, v64
	v_fmac_f16_e32 v177, 0x38b4, v176
	v_fmac_f16_e32 v55, -0.5, v65
	v_mul_f16_e32 v176, 0xba79, v176
	v_add_f16_e32 v56, v56, v57
	v_mul_f16_e32 v64, 0xb4f2, v54
	v_add_f16_e32 v80, v32, v69
	v_fmamk_f16 v65, v63, 0x3b9c, v55
	v_fmac_f16_e32 v55, 0xbb9c, v63
	v_fmac_f16_e32 v176, 0xb8b4, v68
	v_sub_f16_e32 v68, v29, v41
	v_add_f16_e32 v29, v170, v172
	v_fmac_f16_e32 v65, 0xb8b4, v59
	v_fmac_f16_e32 v55, 0x38b4, v59
	v_add_f16_e32 v59, v30, v177
	v_fmac_f16_e32 v178, 0x3a79, v67
	v_fma_f16 v29, -0.5, v29, v27
	v_fmac_f16_e32 v65, 0x34f2, v56
	v_fmac_f16_e32 v55, 0x34f2, v56
	v_mul_f16_e32 v56, 0x38b4, v67
	v_add_f16_e32 v67, v37, v176
	v_sub_f16_e32 v69, v32, v69
	v_mul_f16_e32 v57, 0x3b9c, v65
	v_fmac_f16_e32 v64, 0x3b9c, v55
	v_fmac_f16_e32 v56, 0x3a79, v74
	v_mul_f16_e32 v180, 0xb4f2, v55
	v_sub_f16_e32 v55, v30, v177
	v_fmac_f16_e32 v57, 0x34f2, v75
	v_sub_f16_e32 v30, v164, v171
	v_add_f16_e32 v77, v35, v56
	v_sub_f16_e32 v62, v35, v56
	v_sub_f16_e32 v32, v165, v169
	v_add_f16_e32 v73, v39, v57
	v_sub_f16_e32 v63, v39, v57
	v_sub_f16_e32 v57, v37, v176
	v_fmamk_f16 v35, v30, 0x3b9c, v29
	v_sub_f16_e32 v37, v166, v170
	v_sub_f16_e32 v39, v173, v172
	v_fmac_f16_e32 v29, 0xbb9c, v30
	v_add_f16_e32 v72, v26, v64
	v_fmac_f16_e32 v35, 0x38b4, v32
	v_fmac_f16_e32 v180, 0xbb9c, v54
	v_add_f16_e32 v37, v37, v39
	v_fmac_f16_e32 v29, 0xb8b4, v32
	v_sub_f16_e32 v54, v26, v64
	v_add_f16_e32 v26, v27, v166
	v_sub_f16_e32 v39, v170, v166
	v_fmac_f16_e32 v35, 0x34f2, v37
	v_fmac_f16_e32 v29, 0x34f2, v37
	v_add_f16_e32 v37, v166, v173
	v_sub_f16_e32 v41, v172, v173
	v_add_f16_e32 v78, v174, v178
	v_sub_f16_e32 v64, v174, v178
	v_add_f16_e32 v74, v45, v180
	v_fmac_f16_e32 v27, -0.5, v37
	v_add_f16_e32 v39, v39, v41
	v_sub_f16_e32 v56, v45, v180
	v_sub_f16_e32 v41, v164, v165
	;; [unrolled: 1-line block ×3, first 2 shown]
	v_fmamk_f16 v37, v32, 0xbb9c, v27
	v_fmac_f16_e32 v27, 0x3b9c, v32
	v_add_f16_e32 v32, v165, v169
	v_add_f16_e32 v26, v26, v170
	;; [unrolled: 1-line block ×3, first 2 shown]
	v_fmac_f16_e32 v37, 0x38b4, v30
	v_fmac_f16_e32 v27, 0xb8b4, v30
	v_fma_f16 v174, -0.5, v32, v93
	v_sub_f16_e32 v32, v166, v173
	v_add_f16_e32 v30, v93, v164
	v_fmac_f16_e32 v37, 0x34f2, v39
	v_fmac_f16_e32 v27, 0x34f2, v39
	v_sub_f16_e32 v39, v170, v172
	v_fmamk_f16 v166, v32, 0xbb9c, v174
	v_fmac_f16_e32 v174, 0x3b9c, v32
	v_sub_f16_e32 v45, v169, v171
	v_add_f16_e32 v30, v30, v165
	v_add_f16_e32 v26, v26, v172
	v_fmac_f16_e32 v166, 0xb8b4, v39
	v_fmac_f16_e32 v174, 0x38b4, v39
	v_fmac_f16_e32 v179, 0x34f2, v65
	v_add_f16_e32 v30, v30, v169
	v_sub_f16_e32 v169, v58, v53
	v_fmac_f16_e32 v166, 0x34f2, v41
	v_fmac_f16_e32 v174, 0x34f2, v41
	v_add_f16_e32 v41, v164, v171
	v_add_f16_e32 v30, v30, v171
	v_sub_f16_e32 v171, v53, v58
	v_add_f16_e32 v26, v26, v173
	v_add_f16_e32 v75, v175, v179
	v_fmac_f16_e32 v93, -0.5, v41
	v_sub_f16_e32 v41, v165, v164
	v_sub_f16_e32 v165, v46, v51
	;; [unrolled: 1-line block ×3, first 2 shown]
	v_fmamk_f16 v170, v39, 0x3b9c, v93
	v_fmac_f16_e32 v93, 0xbb9c, v39
	v_add_f16_e32 v41, v41, v45
	v_sub_f16_e32 v45, v36, v50
	v_add_f16_e32 v165, v165, v169
	v_fmac_f16_e32 v170, 0xb8b4, v32
	v_fmac_f16_e32 v93, 0x38b4, v32
	v_add_f16_e32 v32, v47, v46
	v_sub_f16_e32 v169, v51, v46
	v_fmac_f16_e32 v170, 0x34f2, v41
	v_fmac_f16_e32 v93, 0x34f2, v41
	v_add_f16_e32 v32, v32, v51
	v_add_f16_e32 v169, v169, v171
	;; [unrolled: 1-line block ×5, first 2 shown]
	v_fma_f16 v39, -0.5, v32, v47
	v_sub_f16_e32 v32, v38, v52
	v_fmamk_f16 v164, v32, 0x3b9c, v39
	v_fmac_f16_e32 v39, 0xbb9c, v32
	v_fmac_f16_e32 v164, 0x38b4, v45
	;; [unrolled: 1-line block ×5, first 2 shown]
	v_add_f16_e32 v165, v46, v58
	v_mul_f16_e32 v176, 0xba79, v39
	v_fmac_f16_e32 v47, -0.5, v165
	v_fmamk_f16 v165, v45, 0xbb9c, v47
	v_fmac_f16_e32 v47, 0x3b9c, v45
	v_sub_f16_e32 v45, v51, v53
	v_sub_f16_e32 v51, v52, v50
	v_add_f16_e32 v53, v26, v41
	v_fmac_f16_e32 v165, 0x38b4, v32
	v_fmac_f16_e32 v47, 0xb8b4, v32
	v_add_f16_e32 v32, v40, v38
	v_fmac_f16_e32 v165, 0x34f2, v169
	v_fmac_f16_e32 v47, 0x34f2, v169
	v_add_f16_e32 v32, v32, v36
	v_mul_f16_e32 v175, 0xb4f2, v47
	v_add_f16_e32 v32, v32, v50
	v_add_f16_e32 v169, v32, v52
	;; [unrolled: 1-line block ×3, first 2 shown]
	v_fma_f16 v171, -0.5, v32, v40
	v_sub_f16_e32 v32, v46, v58
	v_sub_f16_e32 v46, v38, v36
	;; [unrolled: 1-line block ×3, first 2 shown]
	v_add_f16_e32 v58, v30, v169
	v_fmamk_f16 v172, v32, 0xbb9c, v171
	v_fmac_f16_e32 v171, 0x3b9c, v32
	v_add_f16_e32 v46, v46, v51
	v_fmac_f16_e32 v172, 0xb8b4, v45
	v_fmac_f16_e32 v171, 0x38b4, v45
	;; [unrolled: 1-line block ×4, first 2 shown]
	v_add_f16_e32 v46, v38, v52
	v_sub_f16_e32 v38, v50, v52
	v_fmac_f16_e32 v176, 0x38b4, v171
	v_fmac_f16_e32 v40, -0.5, v46
	v_add_f16_e32 v36, v36, v38
	v_mul_f16_e32 v171, 0xba79, v171
	v_fmamk_f16 v173, v45, 0x3b9c, v40
	v_fmac_f16_e32 v40, 0xbb9c, v45
	v_fmac_f16_e32 v171, 0xb8b4, v39
	;; [unrolled: 1-line block ×4, first 2 shown]
	v_add_f16_e32 v39, v174, v171
	v_add_f16_e32 v32, v29, v176
	v_fmac_f16_e32 v173, 0x34f2, v36
	v_fmac_f16_e32 v40, 0x34f2, v36
	v_mul_f16_e32 v36, 0x38b4, v172
	v_mul_f16_e32 v38, 0x3b9c, v173
	v_fmac_f16_e32 v175, 0x3b9c, v40
	v_fmac_f16_e32 v36, 0x3a79, v164
	v_mul_f16_e32 v164, 0xb8b4, v164
	v_fmac_f16_e32 v38, 0x34f2, v165
	v_mul_f16_e32 v165, 0xbb9c, v165
	v_add_f16_e32 v51, v35, v36
	v_fmac_f16_e32 v164, 0x3a79, v172
	v_sub_f16_e32 v35, v35, v36
	v_add_f16_e32 v46, v37, v38
	v_sub_f16_e32 v36, v37, v38
	v_fmac_f16_e32 v165, 0x34f2, v173
	v_add_f16_e32 v52, v166, v164
	v_sub_f16_e32 v37, v166, v164
	v_add_f16_e32 v164, v98, v100
	v_sub_f16_e32 v166, v94, v99
	v_add_f16_e32 v50, v170, v165
	v_mul_f16_e32 v172, 0xb4f2, v40
	v_sub_f16_e32 v40, v26, v41
	v_fma_f16 v164, -0.5, v164, v24
	v_sub_f16_e32 v41, v30, v169
	v_sub_f16_e32 v38, v170, v165
	;; [unrolled: 1-line block ×4, first 2 shown]
	v_fmamk_f16 v165, v166, 0x3b9c, v164
	v_sub_f16_e32 v170, v96, v98
	v_sub_f16_e32 v171, v101, v100
	v_fmac_f16_e32 v164, 0xbb9c, v166
	v_fmac_f16_e32 v172, 0xbb9c, v47
	v_fmac_f16_e32 v165, 0x38b4, v169
	v_add_f16_e32 v45, v27, v175
	v_add_f16_e32 v170, v170, v171
	v_fmac_f16_e32 v164, 0xb8b4, v169
	v_add_f16_e32 v47, v93, v172
	v_sub_f16_e32 v26, v27, v175
	v_sub_f16_e32 v27, v29, v176
	v_fmac_f16_e32 v165, 0x34f2, v170
	v_fmac_f16_e32 v164, 0x34f2, v170
	v_add_f16_e32 v170, v96, v101
	v_sub_f16_e32 v29, v93, v172
	v_add_f16_e32 v93, v24, v96
	v_sub_f16_e32 v172, v100, v101
	v_pack_b32_f16 v27, v27, v30
	v_fmac_f16_e32 v24, -0.5, v170
	v_sub_f16_e32 v170, v98, v96
	v_add_f16_e32 v93, v93, v98
	v_sub_f16_e32 v96, v96, v101
	v_sub_f16_e32 v98, v98, v100
	v_fmamk_f16 v171, v169, 0xbb9c, v24
	v_fmac_f16_e32 v24, 0x3b9c, v169
	v_add_f16_e32 v93, v93, v100
	v_add_f16_e32 v170, v170, v172
	v_sub_f16_e32 v100, v94, v95
	v_fmac_f16_e32 v171, 0x38b4, v166
	v_fmac_f16_e32 v24, 0xb8b4, v166
	v_add_f16_e32 v166, v66, v94
	v_add_f16_e32 v93, v93, v101
	v_pack_b32_f16 v26, v26, v29
	v_fmac_f16_e32 v171, 0x34f2, v170
	v_fmac_f16_e32 v24, 0x34f2, v170
	v_add_f16_e32 v166, v166, v95
	v_sub_f16_e32 v170, v99, v97
	v_add_f16_e32 v166, v166, v97
	v_add_f16_e32 v100, v100, v170
	;; [unrolled: 1-line block ×4, first 2 shown]
	v_fma_f16 v166, -0.5, v166, v66
	v_fmamk_f16 v101, v96, 0xbb9c, v166
	v_fmac_f16_e32 v166, 0x3b9c, v96
	v_fmac_f16_e32 v101, 0xb8b4, v98
	;; [unrolled: 1-line block ×5, first 2 shown]
	v_add_f16_e32 v100, v94, v99
	v_sub_f16_e32 v94, v95, v94
	v_sub_f16_e32 v95, v97, v99
	;; [unrolled: 1-line block ×4, first 2 shown]
	v_fmac_f16_e32 v66, -0.5, v100
	v_add_f16_e32 v94, v94, v95
	v_fmamk_f16 v170, v98, 0x3b9c, v66
	v_fmac_f16_e32 v66, 0xbb9c, v98
	v_sub_f16_e32 v98, v86, v87
	v_fmac_f16_e32 v170, 0xb8b4, v96
	v_fmac_f16_e32 v66, 0x38b4, v96
	v_add_f16_e32 v98, v98, v99
	v_sub_f16_e32 v99, v88, v92
	v_fmac_f16_e32 v170, 0x34f2, v94
	v_fmac_f16_e32 v66, 0x34f2, v94
	v_add_f16_e32 v94, v81, v86
	v_add_f16_e32 v94, v94, v87
	;; [unrolled: 1-line block ×5, first 2 shown]
	v_fma_f16 v172, -0.5, v94, v81
	v_sub_f16_e32 v94, v83, v89
	v_fmamk_f16 v95, v94, 0x3b9c, v172
	v_fmac_f16_e32 v172, 0xbb9c, v94
	v_fmac_f16_e32 v95, 0x38b4, v97
	;; [unrolled: 1-line block ×5, first 2 shown]
	v_add_f16_e32 v98, v86, v92
	v_mul_f16_e32 v179, 0xb8b4, v95
	v_mul_f16_e32 v178, 0xba79, v172
	v_fmac_f16_e32 v81, -0.5, v98
	v_sub_f16_e32 v98, v87, v86
	v_sub_f16_e32 v86, v86, v92
	;; [unrolled: 1-line block ×4, first 2 shown]
	v_fmamk_f16 v173, v97, 0xbb9c, v81
	v_fmac_f16_e32 v81, 0x3b9c, v97
	v_add_f16_e32 v98, v98, v99
	v_fmac_f16_e32 v173, 0x38b4, v94
	v_fmac_f16_e32 v81, 0xb8b4, v94
	v_add_f16_e32 v94, v82, v83
	v_fmac_f16_e32 v173, 0x34f2, v98
	v_fmac_f16_e32 v81, 0x34f2, v98
	v_add_f16_e32 v94, v94, v84
	v_add_f16_e32 v98, v93, v96
	v_mul_f16_e32 v177, 0xb4f2, v81
	v_add_f16_e32 v94, v94, v85
	v_add_f16_e32 v174, v94, v89
	;; [unrolled: 1-line block ×4, first 2 shown]
	v_fma_f16 v175, -0.5, v94, v82
	v_sub_f16_e32 v94, v89, v85
	v_fmamk_f16 v92, v86, 0xbb9c, v175
	v_fmac_f16_e32 v175, 0x3b9c, v86
	v_add_f16_e32 v88, v88, v94
	v_fmac_f16_e32 v92, 0xb8b4, v87
	v_fmac_f16_e32 v175, 0x38b4, v87
	;; [unrolled: 1-line block ×4, first 2 shown]
	v_add_f16_e32 v88, v83, v89
	v_sub_f16_e32 v83, v84, v83
	v_sub_f16_e32 v84, v85, v89
	v_fmac_f16_e32 v179, 0x3a79, v92
	v_sub_f16_e32 v85, v93, v96
	v_fmac_f16_e32 v82, -0.5, v88
	v_sub_f16_e32 v96, v169, v174
	v_add_f16_e32 v83, v83, v84
	v_add_f16_e32 v99, v101, v179
	v_fmac_f16_e32 v178, 0x38b4, v175
	v_fmamk_f16 v88, v87, 0x3b9c, v82
	v_fmac_f16_e32 v82, 0xbb9c, v87
	v_mul_f16_e32 v87, 0x38b4, v92
	v_sub_f16_e32 v92, v101, v179
	v_mov_b32_e32 v101, 30
	v_fmac_f16_e32 v88, 0xb8b4, v86
	v_fmac_f16_e32 v82, 0x38b4, v86
	;; [unrolled: 1-line block ×3, first 2 shown]
	v_mul_f16_e32 v175, 0xba79, v175
	v_mul_u32_u24_sdwa v42, v42, v101 dst_sel:DWORD dst_unused:UNUSED_PAD src0_sel:WORD_0 src1_sel:DWORD
	v_fmac_f16_e32 v88, 0x34f2, v83
	v_mul_u32_u24_sdwa v33, v33, v101 dst_sel:DWORD dst_unused:UNUSED_PAD src0_sel:WORD_0 src1_sel:DWORD
	v_fmac_f16_e32 v82, 0x34f2, v83
	v_add_f16_e32 v97, v165, v87
	v_fmac_f16_e32 v175, 0xb8b4, v172
	v_mul_f16_e32 v176, 0x3b9c, v88
	v_add_lshl_u32 v169, v33, v31, 2
	v_pack_b32_f16 v31, v53, v58
	v_pack_b32_f16 v33, v51, v52
	v_fmac_f16_e32 v177, 0x3b9c, v82
	v_fmac_f16_e32 v176, 0x34f2, v173
	v_mul_f16_e32 v173, 0xbb9c, v173
	v_add_f16_e32 v83, v164, v178
	v_add_f16_e32 v84, v166, v175
	v_add_f16_e32 v89, v24, v177
	v_add_f16_e32 v86, v171, v176
	v_fmac_f16_e32 v173, 0x34f2, v88
	v_mul_f16_e32 v88, 0xb4f2, v82
	v_sub_f16_e32 v82, v171, v176
	v_sub_f16_e32 v24, v24, v177
	v_add_f16_e32 v95, v170, v173
	v_sub_f16_e32 v93, v170, v173
	v_add_lshl_u32 v170, v42, v43, 2
	v_pack_b32_f16 v42, v79, v80
	v_pack_b32_f16 v43, v77, v78
	v_fmac_f16_e32 v88, 0xbb9c, v81
	v_sub_f16_e32 v81, v165, v87
	v_sub_f16_e32 v87, v164, v178
	ds_write2_b32 v170, v42, v43 offset1:3
	v_pack_b32_f16 v42, v73, v75
	v_pack_b32_f16 v43, v72, v74
	v_add_f16_e32 v94, v66, v88
	v_sub_f16_e32 v66, v66, v88
	v_sub_f16_e32 v88, v166, v175
	ds_write2_b32 v170, v42, v43 offset0:6 offset1:9
	v_pack_b32_f16 v42, v59, v67
	v_pack_b32_f16 v43, v68, v69
	;; [unrolled: 1-line block ×3, first 2 shown]
	ds_write2_b32 v170, v42, v43 offset0:12 offset1:15
	v_pack_b32_f16 v42, v62, v64
	v_pack_b32_f16 v43, v63, v65
	ds_write2_b32 v170, v42, v43 offset0:18 offset1:21
	v_pack_b32_f16 v42, v54, v56
	v_pack_b32_f16 v43, v55, v57
	ds_write2_b32 v170, v42, v43 offset0:24 offset1:27
	ds_write2_b32 v169, v31, v33 offset1:3
	v_pack_b32_f16 v31, v46, v50
	v_pack_b32_f16 v33, v45, v47
	ds_write2_b32 v169, v26, v27 offset0:24 offset1:27
	v_mad_u16 v26, v28, 30, v34
	v_pack_b32_f16 v27, v97, v99
	ds_write2_b32 v169, v31, v33 offset0:6 offset1:9
	v_pack_b32_f16 v31, v32, v39
	v_pack_b32_f16 v32, v40, v41
	v_lshlrev_b32_sdwa v165, v91, v26 dst_sel:DWORD dst_unused:UNUSED_PAD src0_sel:DWORD src1_sel:WORD_0
	v_pack_b32_f16 v26, v98, v100
	ds_write2_b32 v169, v31, v32 offset0:12 offset1:15
	v_pack_b32_f16 v31, v35, v37
	v_pack_b32_f16 v32, v36, v38
	ds_write2_b32 v169, v31, v32 offset0:18 offset1:21
	v_mul_lo_u16 v32, 0x89, v44
	ds_write2_b32 v165, v26, v27 offset1:3
	v_pack_b32_f16 v26, v86, v95
	v_pack_b32_f16 v27, v89, v94
	v_lshrrev_b16 v72, 12, v32
	ds_write2_b32 v165, v26, v27 offset0:6 offset1:9
	v_pack_b32_f16 v26, v83, v84
	v_mul_lo_u16 v32, v72, 30
	v_pack_b32_f16 v27, v85, v96
	v_sub_nc_u16 v32, v90, v32
	ds_write2_b32 v165, v26, v27 offset0:12 offset1:15
	v_pack_b32_f16 v26, v81, v92
	v_pack_b32_f16 v27, v82, v93
	v_and_b32_e32 v73, 0xff, v32
	ds_write2_b32 v165, v26, v27 offset0:18 offset1:21
	v_pack_b32_f16 v26, v87, v88
	v_mad_u64_u32 v[190:191], null, v73, 36, s[2:3]
	ds_write2_b32 v165, v24, v26 offset0:24 offset1:27
	s_waitcnt lgkmcnt(0)
	s_barrier
	buffer_gl0_inv
	s_clause 0x1
	global_load_dwordx4 v[32:35], v[190:191], off offset:108
	global_load_dword v166, v[190:191], off offset:140
	ds_read2_b32 v[50:51], v147 offset0:52 offset1:142
	ds_read2_b32 v[27:28], v129 offset0:28 offset1:118
	;; [unrolled: 1-line block ×14, first 2 shown]
	ds_read2_b32 v[52:53], v156 offset1:90
	s_waitcnt lgkmcnt(14)
	v_lshrrev_b32_e32 v24, 16, v51
	s_waitcnt lgkmcnt(13)
	v_lshrrev_b32_e32 v26, 16, v27
	;; [unrolled: 2-line block ×10, first 2 shown]
	v_lshrrev_b32_e32 v174, 16, v28
	s_waitcnt lgkmcnt(4)
	v_lshrrev_b32_e32 v176, 16, v66
	v_lshrrev_b32_e32 v193, 16, v30
	s_waitcnt lgkmcnt(3)
	v_lshrrev_b32_e32 v194, 16, v64
	;; [unrolled: 3-line block ×4, first 2 shown]
	v_lshrrev_b32_e32 v180, 16, v69
	v_lshrrev_b32_e32 v177, 16, v42
	;; [unrolled: 1-line block ×9, first 2 shown]
	s_waitcnt lgkmcnt(0)
	v_lshrrev_b32_e32 v74, 16, v52
	v_lshrrev_b32_e32 v192, 16, v53
	;; [unrolled: 1-line block ×3, first 2 shown]
	s_waitcnt vmcnt(1)
	v_mul_f16_sdwa v82, v51, v32 dst_sel:DWORD dst_unused:UNUSED_PAD src0_sel:DWORD src1_sel:WORD_1
	v_mul_f16_sdwa v37, v24, v32 dst_sel:DWORD dst_unused:UNUSED_PAD src0_sel:DWORD src1_sel:WORD_1
	;; [unrolled: 1-line block ×3, first 2 shown]
	s_waitcnt vmcnt(0)
	v_mul_f16_sdwa v89, v57, v166 dst_sel:DWORD dst_unused:UNUSED_PAD src0_sel:DWORD src1_sel:WORD_1
	v_mul_f16_sdwa v83, v43, v34 dst_sel:DWORD dst_unused:UNUSED_PAD src0_sel:DWORD src1_sel:WORD_1
	v_fmac_f16_e32 v82, v24, v32
	v_mul_f16_sdwa v24, v26, v33 dst_sel:DWORD dst_unused:UNUSED_PAD src0_sel:DWORD src1_sel:WORD_1
	v_fma_f16 v81, v51, v32, -v37
	v_fmac_f16_e32 v95, v36, v35
	v_mul_f16_sdwa v94, v27, v33 dst_sel:DWORD dst_unused:UNUSED_PAD src0_sel:DWORD src1_sel:WORD_1
	v_fmac_f16_e32 v83, v31, v34
	v_fma_f16 v97, v27, v33, -v24
	v_mul_f16_sdwa v24, v31, v34 dst_sel:DWORD dst_unused:UNUSED_PAD src0_sel:DWORD src1_sel:WORD_1
	v_fmac_f16_e32 v89, v85, v166
	v_fmac_f16_e32 v94, v26, v33
	v_fma_f16 v86, v43, v34, -v24
	v_mul_f16_sdwa v24, v36, v35 dst_sel:DWORD dst_unused:UNUSED_PAD src0_sel:DWORD src1_sel:WORD_1
	global_load_dwordx4 v[36:39], v[190:191], off offset:124
	v_fma_f16 v99, v29, v35, -v24
	s_waitcnt vmcnt(0)
	v_mul_f16_sdwa v24, v47, v36 dst_sel:DWORD dst_unused:UNUSED_PAD src0_sel:DWORD src1_sel:WORD_1
	v_mul_f16_sdwa v98, v45, v37 dst_sel:DWORD dst_unused:UNUSED_PAD src0_sel:DWORD src1_sel:WORD_1
	;; [unrolled: 1-line block ×5, first 2 shown]
	v_fma_f16 v88, v41, v36, -v24
	v_mul_f16_sdwa v24, v75, v37 dst_sel:DWORD dst_unused:UNUSED_PAD src0_sel:DWORD src1_sel:WORD_1
	v_fmac_f16_e32 v98, v75, v37
	v_fmac_f16_e32 v87, v77, v38
	;; [unrolled: 1-line block ×4, first 2 shown]
	v_fma_f16 v101, v45, v37, -v24
	v_mul_f16_sdwa v24, v77, v38 dst_sel:DWORD dst_unused:UNUSED_PAD src0_sel:DWORD src1_sel:WORD_1
	v_fma_f16 v92, v59, v38, -v24
	v_mul_f16_sdwa v24, v80, v39 dst_sel:DWORD dst_unused:UNUSED_PAD src0_sel:DWORD src1_sel:WORD_1
	v_fma_f16 v173, v78, v39, -v24
	v_mul_f16_sdwa v24, v85, v166 dst_sel:DWORD dst_unused:UNUSED_PAD src0_sel:DWORD src1_sel:WORD_1
	v_fma_f16 v93, v57, v166, -v24
	v_mul_lo_u16 v24, 0x89, v25
	v_lshrrev_b16 v57, 12, v24
	v_mul_lo_u16 v24, v57, 30
	v_sub_nc_u16 v24, v70, v24
	v_and_b32_e32 v51, 0xff, v24
	v_mad_u64_u32 v[43:44], null, v51, 36, s[2:3]
	global_load_dwordx4 v[24:27], v[43:44], off offset:108
	s_waitcnt vmcnt(0)
	v_mul_f16_sdwa v29, v164, v24 dst_sel:DWORD dst_unused:UNUSED_PAD src0_sel:DWORD src1_sel:WORD_1
	v_mul_f16_sdwa v201, v28, v25 dst_sel:DWORD dst_unused:UNUSED_PAD src0_sel:DWORD src1_sel:WORD_1
	;; [unrolled: 1-line block ×3, first 2 shown]
	v_fma_f16 v75, v68, v24, -v29
	v_mul_f16_sdwa v29, v174, v25 dst_sel:DWORD dst_unused:UNUSED_PAD src0_sel:DWORD src1_sel:WORD_1
	v_mul_f16_sdwa v68, v68, v24 dst_sel:DWORD dst_unused:UNUSED_PAD src0_sel:DWORD src1_sel:WORD_1
	v_fmac_f16_e32 v201, v174, v25
	v_fmac_f16_e32 v202, v193, v27
	v_fma_f16 v203, v28, v25, -v29
	v_mul_f16_sdwa v28, v176, v26 dst_sel:DWORD dst_unused:UNUSED_PAD src0_sel:DWORD src1_sel:WORD_1
	v_fmac_f16_e32 v68, v164, v24
	global_load_dword v164, v[43:44], off offset:140
	v_fma_f16 v77, v66, v26, -v28
	v_mul_f16_sdwa v28, v193, v27 dst_sel:DWORD dst_unused:UNUSED_PAD src0_sel:DWORD src1_sel:WORD_1
	v_mul_f16_sdwa v66, v66, v26 dst_sel:DWORD dst_unused:UNUSED_PAD src0_sel:DWORD src1_sel:WORD_1
	v_fma_f16 v205, v30, v27, -v28
	global_load_dwordx4 v[28:31], v[43:44], off offset:124
	v_fmac_f16_e32 v66, v176, v26
	s_waitcnt vmcnt(0)
	v_mul_f16_sdwa v41, v194, v28 dst_sel:DWORD dst_unused:UNUSED_PAD src0_sel:DWORD src1_sel:WORD_1
	v_mul_f16_sdwa v206, v79, v31 dst_sel:DWORD dst_unused:UNUSED_PAD src0_sel:DWORD src1_sel:WORD_1
	;; [unrolled: 1-line block ×3, first 2 shown]
	v_fma_f16 v78, v64, v28, -v41
	v_mul_f16_sdwa v41, v195, v29 dst_sel:DWORD dst_unused:UNUSED_PAD src0_sel:DWORD src1_sel:WORD_1
	v_fmac_f16_e32 v204, v195, v29
	v_mul_f16_sdwa v64, v64, v28 dst_sel:DWORD dst_unused:UNUSED_PAD src0_sel:DWORD src1_sel:WORD_1
	v_fmac_f16_e32 v206, v197, v31
	v_fma_f16 v207, v46, v29, -v41
	v_mul_f16_sdwa v41, v196, v30 dst_sel:DWORD dst_unused:UNUSED_PAD src0_sel:DWORD src1_sel:WORD_1
	v_fmac_f16_e32 v64, v194, v28
	v_fma_f16 v80, v62, v30, -v41
	v_mul_f16_sdwa v41, v197, v31 dst_sel:DWORD dst_unused:UNUSED_PAD src0_sel:DWORD src1_sel:WORD_1
	v_mul_f16_sdwa v62, v62, v30 dst_sel:DWORD dst_unused:UNUSED_PAD src0_sel:DWORD src1_sel:WORD_1
	v_fma_f16 v208, v79, v31, -v41
	v_mul_f16_sdwa v41, v198, v164 dst_sel:DWORD dst_unused:UNUSED_PAD src0_sel:DWORD src1_sel:WORD_1
	v_mul_f16_sdwa v79, v54, v164 dst_sel:DWORD dst_unused:UNUSED_PAD src0_sel:DWORD src1_sel:WORD_1
	v_fmac_f16_e32 v62, v196, v30
	v_fma_f16 v85, v54, v164, -v41
	v_mov_b32_e32 v41, 0x8889
	v_fmac_f16_e32 v79, v198, v164
	v_mul_u32_u24_sdwa v41, v76, v41 dst_sel:DWORD dst_unused:UNUSED_PAD src0_sel:WORD_0 src1_sel:DWORD
	v_lshrrev_b32_e32 v54, 20, v41
	v_mul_lo_u16 v41, v54, 30
	v_sub_nc_u16 v59, v76, v41
	v_mul_lo_u16 v41, v59, 36
	v_and_b32_e32 v41, 0xffff, v41
	v_add_co_u32 v190, s0, s2, v41
	v_add_co_ci_u32_e64 v191, null, s3, 0, s0
	v_add_co_u32 v220, s0, s2, v219
	v_add_co_ci_u32_e64 v221, null, s3, 0, s0
	global_load_dwordx4 v[44:47], v[190:191], off offset:108
	s_waitcnt vmcnt(0)
	v_mul_f16_sdwa v41, v180, v44 dst_sel:DWORD dst_unused:UNUSED_PAD src0_sel:DWORD src1_sel:WORD_1
	v_mul_f16_sdwa v176, v69, v44 dst_sel:DWORD dst_unused:UNUSED_PAD src0_sel:DWORD src1_sel:WORD_1
	;; [unrolled: 1-line block ×4, first 2 shown]
	v_fma_f16 v174, v69, v44, -v41
	v_mul_f16_sdwa v41, v177, v45 dst_sel:DWORD dst_unused:UNUSED_PAD src0_sel:DWORD src1_sel:WORD_1
	v_fmac_f16_e32 v176, v180, v44
	v_fmac_f16_e32 v193, v177, v45
	v_mul_f16_sdwa v177, v67, v46 dst_sel:DWORD dst_unused:UNUSED_PAD src0_sel:DWORD src1_sel:WORD_1
	v_fmac_f16_e32 v194, v178, v47
	v_fma_f16 v195, v42, v45, -v41
	v_mul_f16_sdwa v41, v181, v46 dst_sel:DWORD dst_unused:UNUSED_PAD src0_sel:DWORD src1_sel:WORD_1
	v_sub_f16_e32 v69, v173, v101
	v_fmac_f16_e32 v177, v181, v46
	v_fma_f16 v180, v67, v46, -v41
	v_mul_f16_sdwa v41, v178, v47 dst_sel:DWORD dst_unused:UNUSED_PAD src0_sel:DWORD src1_sel:WORD_1
	v_fma_f16 v197, v40, v47, -v41
	global_load_dwordx4 v[40:43], v[190:191], off offset:124
	s_waitcnt vmcnt(0)
	v_mul_f16_sdwa v67, v182, v40 dst_sel:DWORD dst_unused:UNUSED_PAD src0_sel:DWORD src1_sel:WORD_1
	v_mul_f16_sdwa v178, v65, v40 dst_sel:DWORD dst_unused:UNUSED_PAD src0_sel:DWORD src1_sel:WORD_1
	;; [unrolled: 1-line block ×4, first 2 shown]
	v_fma_f16 v181, v65, v40, -v67
	v_mul_f16_sdwa v65, v179, v41 dst_sel:DWORD dst_unused:UNUSED_PAD src0_sel:DWORD src1_sel:WORD_1
	v_fmac_f16_e32 v178, v182, v40
	v_fmac_f16_e32 v198, v171, v43
	v_fmac_f16_e32 v196, v179, v41
	v_mul_f16_sdwa v179, v63, v42 dst_sel:DWORD dst_unused:UNUSED_PAD src0_sel:DWORD src1_sel:WORD_1
	v_fma_f16 v199, v58, v41, -v65
	v_mul_f16_sdwa v58, v175, v42 dst_sel:DWORD dst_unused:UNUSED_PAD src0_sel:DWORD src1_sel:WORD_1
	v_sub_f16_e32 v65, v95, v98
	v_sub_f16_e32 v67, v97, v99
	v_fmac_f16_e32 v179, v175, v42
	v_fma_f16 v182, v63, v42, -v58
	v_mul_f16_sdwa v58, v171, v43 dst_sel:DWORD dst_unused:UNUSED_PAD src0_sel:DWORD src1_sel:WORD_1
	global_load_dword v171, v[190:191], off offset:140
	v_add_f16_e32 v67, v67, v69
	v_sub_f16_e32 v69, v99, v97
	s_waitcnt vmcnt(0)
	v_fma_f16 v200, v56, v43, -v58
	v_sub_f16_e32 v58, v94, v100
	s_barrier
	buffer_gl0_inv
	v_mul_f16_sdwa v56, v172, v171 dst_sel:DWORD dst_unused:UNUSED_PAD src0_sel:DWORD src1_sel:WORD_1
	v_mul_f16_sdwa v190, v55, v171 dst_sel:DWORD dst_unused:UNUSED_PAD src0_sel:DWORD src1_sel:WORD_1
	v_fma_f16 v191, v55, v171, -v56
	v_add_f16_e32 v56, v99, v101
	v_add_f16_e32 v55, v52, v97
	v_fmac_f16_e32 v190, v172, v171
	v_sub_f16_e32 v172, v101, v173
	v_fma_f16 v56, -0.5, v56, v52
	v_add_f16_e32 v55, v55, v99
	v_add_f16_e32 v69, v69, v172
	v_fmamk_f16 v63, v58, 0x3b9c, v56
	v_fmac_f16_e32 v56, 0xbb9c, v58
	v_add_f16_e32 v55, v55, v101
	v_fmac_f16_e32 v63, 0x38b4, v65
	v_fmac_f16_e32 v56, 0xb8b4, v65
	v_add_f16_e32 v55, v55, v173
	v_fmac_f16_e32 v63, 0x34f2, v67
	v_fmac_f16_e32 v56, 0x34f2, v67
	v_add_f16_e32 v67, v97, v173
	v_fma_f16 v52, -0.5, v67, v52
	v_fmamk_f16 v67, v65, 0xbb9c, v52
	v_fmac_f16_e32 v52, 0x3b9c, v65
	v_add_f16_e32 v65, v95, v98
	v_fmac_f16_e32 v67, 0x38b4, v58
	v_fmac_f16_e32 v52, 0xb8b4, v58
	v_fma_f16 v65, -0.5, v65, v74
	v_add_f16_e32 v58, v74, v94
	v_fmac_f16_e32 v67, 0x34f2, v69
	v_fmac_f16_e32 v52, 0x34f2, v69
	v_sub_f16_e32 v69, v97, v173
	v_sub_f16_e32 v97, v99, v101
	;; [unrolled: 1-line block ×4, first 2 shown]
	v_add_f16_e32 v58, v58, v95
	v_fmamk_f16 v209, v69, 0xbb9c, v65
	v_fmac_f16_e32 v65, 0x3b9c, v69
	v_add_f16_e32 v99, v99, v101
	v_add_f16_e32 v58, v58, v98
	v_fmac_f16_e32 v209, 0xb8b4, v97
	v_fmac_f16_e32 v65, 0x38b4, v97
	v_sub_f16_e32 v101, v92, v93
	v_add_f16_e32 v58, v58, v100
	v_fmac_f16_e32 v209, 0x34f2, v99
	v_fmac_f16_e32 v65, 0x34f2, v99
	v_add_f16_e32 v99, v94, v100
	v_sub_f16_e32 v94, v95, v94
	v_sub_f16_e32 v95, v98, v100
	;; [unrolled: 1-line block ×4, first 2 shown]
	v_fmac_f16_e32 v74, -0.5, v99
	v_add_f16_e32 v94, v94, v95
	v_sub_f16_e32 v95, v83, v89
	v_add_f16_e32 v98, v98, v100
	v_fmamk_f16 v210, v97, 0x3b9c, v74
	v_fmac_f16_e32 v74, 0xbb9c, v97
	v_sub_f16_e32 v97, v84, v87
	v_fmac_f16_e32 v210, 0xb8b4, v69
	v_fmac_f16_e32 v74, 0x38b4, v69
	v_add_f16_e32 v69, v81, v86
	v_fmac_f16_e32 v210, 0x34f2, v94
	v_fmac_f16_e32 v74, 0x34f2, v94
	v_add_f16_e32 v94, v88, v92
	v_add_f16_e32 v69, v69, v88
	v_fma_f16 v94, -0.5, v94, v81
	v_add_f16_e32 v69, v69, v92
	v_fmamk_f16 v99, v95, 0x3b9c, v94
	v_fmac_f16_e32 v94, 0xbb9c, v95
	v_add_f16_e32 v69, v69, v93
	v_fmac_f16_e32 v99, 0x38b4, v97
	v_fmac_f16_e32 v94, 0xb8b4, v97
	v_add_f16_e32 v173, v55, v69
	v_fmac_f16_e32 v99, 0x34f2, v98
	v_fmac_f16_e32 v94, 0x34f2, v98
	v_add_f16_e32 v98, v86, v93
	v_mul_f16_e32 v213, 0xb8b4, v99
	v_mul_f16_e32 v212, 0xba79, v94
	v_fmac_f16_e32 v81, -0.5, v98
	v_sub_f16_e32 v98, v88, v86
	v_sub_f16_e32 v86, v86, v93
	;; [unrolled: 1-line block ×4, first 2 shown]
	v_fmamk_f16 v100, v97, 0xbb9c, v81
	v_fmac_f16_e32 v81, 0x3b9c, v97
	v_add_f16_e32 v97, v84, v87
	v_add_f16_e32 v98, v98, v101
	v_fmac_f16_e32 v100, 0x38b4, v95
	v_fmac_f16_e32 v81, 0xb8b4, v95
	v_fma_f16 v211, -0.5, v97, v82
	v_sub_f16_e32 v97, v89, v87
	v_add_f16_e32 v95, v82, v83
	v_fmac_f16_e32 v100, 0x34f2, v98
	v_fmac_f16_e32 v81, 0x34f2, v98
	v_fmamk_f16 v93, v86, 0xbb9c, v211
	v_fmac_f16_e32 v211, 0x3b9c, v86
	v_add_f16_e32 v92, v92, v97
	v_add_f16_e32 v95, v95, v84
	v_mul_f16_e32 v214, 0xbb9c, v100
	v_fmac_f16_e32 v93, 0xb8b4, v88
	v_fmac_f16_e32 v211, 0x38b4, v88
	v_add_f16_e32 v95, v95, v87
	v_fmac_f16_e32 v93, 0x34f2, v92
	v_fmac_f16_e32 v211, 0x34f2, v92
	v_add_f16_e32 v92, v83, v89
	v_sub_f16_e32 v83, v84, v83
	v_sub_f16_e32 v84, v87, v89
	v_add_f16_e32 v95, v95, v89
	v_fmac_f16_e32 v212, 0x38b4, v211
	v_fmac_f16_e32 v82, -0.5, v92
	v_mul_f16_e32 v211, 0xba79, v211
	v_add_f16_e32 v83, v83, v84
	v_mul_f16_e32 v89, 0xb4f2, v81
	v_add_f16_e32 v175, v58, v95
	v_fmamk_f16 v92, v88, 0x3b9c, v82
	v_fmac_f16_e32 v82, 0xbb9c, v88
	v_fmac_f16_e32 v211, 0xb8b4, v94
	v_sub_f16_e32 v94, v55, v69
	v_add_f16_e32 v55, v205, v207
	v_fmac_f16_e32 v92, 0xb8b4, v86
	v_fmac_f16_e32 v82, 0x38b4, v86
	v_add_f16_e32 v86, v56, v212
	v_fmac_f16_e32 v213, 0x3a79, v93
	v_fma_f16 v55, -0.5, v55, v53
	v_fmac_f16_e32 v92, 0x34f2, v83
	v_fmac_f16_e32 v82, 0x34f2, v83
	v_mul_f16_e32 v83, 0x38b4, v93
	v_add_f16_e32 v93, v65, v211
	v_sub_f16_e32 v95, v58, v95
	v_mul_f16_e32 v84, 0x3b9c, v92
	v_fmac_f16_e32 v89, 0x3b9c, v82
	v_fmac_f16_e32 v83, 0x3a79, v99
	v_mul_f16_e32 v215, 0xb4f2, v82
	v_sub_f16_e32 v82, v56, v212
	v_fmac_f16_e32 v84, 0x34f2, v100
	v_sub_f16_e32 v56, v201, v206
	v_add_f16_e32 v101, v63, v83
	v_sub_f16_e32 v87, v63, v83
	v_sub_f16_e32 v58, v202, v204
	v_add_f16_e32 v98, v67, v84
	v_sub_f16_e32 v88, v67, v84
	v_sub_f16_e32 v84, v65, v211
	v_fmamk_f16 v63, v56, 0x3b9c, v55
	v_sub_f16_e32 v65, v203, v205
	v_sub_f16_e32 v67, v208, v207
	v_fmac_f16_e32 v55, 0xbb9c, v56
	v_add_f16_e32 v97, v52, v89
	v_fmac_f16_e32 v63, 0x38b4, v58
	v_fmac_f16_e32 v215, 0xbb9c, v81
	v_add_f16_e32 v65, v65, v67
	v_fmac_f16_e32 v55, 0xb8b4, v58
	v_sub_f16_e32 v81, v52, v89
	v_add_f16_e32 v52, v53, v203
	v_sub_f16_e32 v67, v205, v203
	v_fmac_f16_e32 v63, 0x34f2, v65
	v_fmac_f16_e32 v55, 0x34f2, v65
	v_add_f16_e32 v65, v203, v208
	v_sub_f16_e32 v69, v207, v208
	v_add_f16_e32 v172, v209, v213
	v_sub_f16_e32 v89, v209, v213
	v_add_f16_e32 v99, v74, v215
	v_fmac_f16_e32 v53, -0.5, v65
	v_add_f16_e32 v67, v67, v69
	v_sub_f16_e32 v83, v74, v215
	v_sub_f16_e32 v69, v201, v202
	;; [unrolled: 1-line block ×3, first 2 shown]
	v_fmamk_f16 v65, v58, 0xbb9c, v53
	v_fmac_f16_e32 v53, 0x3b9c, v58
	v_add_f16_e32 v58, v202, v204
	v_add_f16_e32 v52, v52, v205
	;; [unrolled: 1-line block ×3, first 2 shown]
	v_fmac_f16_e32 v65, 0x38b4, v56
	v_fmac_f16_e32 v53, 0xb8b4, v56
	v_fma_f16 v209, -0.5, v58, v192
	v_sub_f16_e32 v58, v203, v208
	v_add_f16_e32 v56, v192, v201
	v_fmac_f16_e32 v65, 0x34f2, v67
	v_fmac_f16_e32 v53, 0x34f2, v67
	v_sub_f16_e32 v67, v205, v207
	v_fmamk_f16 v203, v58, 0xbb9c, v209
	v_fmac_f16_e32 v209, 0x3b9c, v58
	v_sub_f16_e32 v74, v204, v206
	v_add_f16_e32 v56, v56, v202
	v_add_f16_e32 v52, v52, v207
	v_fmac_f16_e32 v203, 0xb8b4, v67
	v_fmac_f16_e32 v209, 0x38b4, v67
	;; [unrolled: 1-line block ×3, first 2 shown]
	v_add_f16_e32 v56, v56, v204
	v_sub_f16_e32 v204, v85, v80
	v_fmac_f16_e32 v203, 0x34f2, v69
	v_fmac_f16_e32 v209, 0x34f2, v69
	v_add_f16_e32 v69, v201, v206
	v_add_f16_e32 v56, v56, v206
	v_sub_f16_e32 v206, v80, v85
	v_add_f16_e32 v52, v52, v208
	v_add_f16_e32 v100, v210, v214
	v_fmac_f16_e32 v192, -0.5, v69
	v_sub_f16_e32 v69, v202, v201
	v_sub_f16_e32 v92, v210, v214
	v_fmamk_f16 v205, v67, 0x3b9c, v192
	v_fmac_f16_e32 v192, 0xbb9c, v67
	v_add_f16_e32 v69, v69, v74
	v_sub_f16_e32 v74, v77, v78
	v_fmac_f16_e32 v205, 0xb8b4, v58
	v_fmac_f16_e32 v192, 0x38b4, v58
	v_add_f16_e32 v58, v75, v77
	v_add_f16_e32 v74, v74, v204
	v_fmac_f16_e32 v205, 0x34f2, v69
	v_fmac_f16_e32 v192, 0x34f2, v69
	v_add_f16_e32 v58, v58, v78
	v_sub_f16_e32 v69, v64, v62
	v_add_f16_e32 v58, v58, v80
	v_add_f16_e32 v67, v58, v85
	;; [unrolled: 1-line block ×3, first 2 shown]
	v_fma_f16 v201, -0.5, v58, v75
	v_sub_f16_e32 v58, v66, v79
	v_fmamk_f16 v202, v58, 0x3b9c, v201
	v_fmac_f16_e32 v201, 0xbb9c, v58
	v_fmac_f16_e32 v202, 0x38b4, v69
	;; [unrolled: 1-line block ×5, first 2 shown]
	v_add_f16_e32 v74, v77, v85
	v_mul_f16_e32 v211, 0xba79, v201
	v_fmac_f16_e32 v75, -0.5, v74
	v_sub_f16_e32 v74, v78, v77
	v_fmamk_f16 v204, v69, 0xbb9c, v75
	v_fmac_f16_e32 v75, 0x3b9c, v69
	v_add_f16_e32 v74, v74, v206
	v_sub_f16_e32 v69, v78, v80
	v_sub_f16_e32 v78, v79, v62
	v_fmac_f16_e32 v204, 0x38b4, v58
	v_fmac_f16_e32 v75, 0xb8b4, v58
	v_add_f16_e32 v58, v68, v66
	v_add_f16_e32 v80, v52, v67
	v_sub_f16_e32 v67, v52, v67
	v_fmac_f16_e32 v204, 0x34f2, v74
	v_fmac_f16_e32 v75, 0x34f2, v74
	v_add_f16_e32 v58, v58, v64
	v_sub_f16_e32 v74, v66, v64
	v_mul_f16_e32 v210, 0xb4f2, v75
	v_add_f16_e32 v58, v58, v62
	v_add_f16_e32 v74, v74, v78
	;; [unrolled: 1-line block ×4, first 2 shown]
	v_sub_f16_e32 v64, v64, v66
	v_sub_f16_e32 v62, v62, v79
	v_fma_f16 v207, -0.5, v58, v68
	v_sub_f16_e32 v58, v77, v85
	v_add_f16_e32 v62, v64, v62
	v_add_f16_e32 v85, v56, v206
	v_fmamk_f16 v77, v58, 0xbb9c, v207
	v_fmac_f16_e32 v207, 0x3b9c, v58
	v_fmac_f16_e32 v77, 0xb8b4, v69
	;; [unrolled: 1-line block ×5, first 2 shown]
	v_add_f16_e32 v74, v66, v79
	v_fmac_f16_e32 v211, 0x38b4, v207
	v_fmac_f16_e32 v68, -0.5, v74
	v_mul_f16_e32 v207, 0xba79, v207
	v_fmamk_f16 v208, v69, 0x3b9c, v68
	v_fmac_f16_e32 v68, 0xbb9c, v69
	v_fmac_f16_e32 v207, 0xb8b4, v201
	v_add_f16_e32 v201, v197, v199
	v_fmac_f16_e32 v208, 0xb8b4, v58
	v_fmac_f16_e32 v68, 0x38b4, v58
	v_add_f16_e32 v58, v55, v211
	v_add_f16_e32 v66, v209, v207
	v_fmac_f16_e32 v208, 0x34f2, v62
	v_fmac_f16_e32 v68, 0x34f2, v62
	v_mul_f16_e32 v62, 0x38b4, v77
	v_mul_f16_e32 v64, 0x3b9c, v208
	v_fmac_f16_e32 v210, 0x3b9c, v68
	v_fmac_f16_e32 v62, 0x3a79, v202
	v_mul_f16_e32 v202, 0xb8b4, v202
	v_fmac_f16_e32 v64, 0x34f2, v204
	v_mul_f16_e32 v204, 0xbb9c, v204
	v_add_f16_e32 v78, v63, v62
	v_fmac_f16_e32 v202, 0x3a79, v77
	v_sub_f16_e32 v62, v63, v62
	v_add_f16_e32 v74, v65, v64
	v_fmac_f16_e32 v204, 0x34f2, v208
	v_sub_f16_e32 v63, v65, v64
	v_add_f16_e32 v79, v203, v202
	v_sub_f16_e32 v64, v203, v202
	v_fma_f16 v203, -0.5, v201, v50
	v_sub_f16_e32 v201, v193, v198
	v_add_f16_e32 v77, v205, v204
	v_mul_f16_e32 v208, 0xb4f2, v68
	v_sub_f16_e32 v68, v56, v206
	v_sub_f16_e32 v65, v205, v204
	v_fmamk_f16 v204, v201, 0x3b9c, v203
	v_sub_f16_e32 v202, v194, v196
	v_sub_f16_e32 v205, v195, v197
	v_sub_f16_e32 v206, v200, v199
	v_fmac_f16_e32 v203, 0xbb9c, v201
	v_fmac_f16_e32 v208, 0xbb9c, v75
	;; [unrolled: 1-line block ×3, first 2 shown]
	v_add_f16_e32 v69, v53, v210
	v_add_f16_e32 v205, v205, v206
	v_fmac_f16_e32 v203, 0xb8b4, v202
	v_add_f16_e32 v75, v192, v208
	v_sub_f16_e32 v52, v53, v210
	v_sub_f16_e32 v53, v55, v211
	v_fmac_f16_e32 v204, 0x34f2, v205
	v_fmac_f16_e32 v203, 0x34f2, v205
	v_add_f16_e32 v205, v195, v200
	v_sub_f16_e32 v55, v192, v208
	v_add_f16_e32 v192, v50, v195
	v_sub_f16_e32 v206, v199, v200
	v_sub_f16_e32 v56, v209, v207
	v_fmac_f16_e32 v50, -0.5, v205
	v_sub_f16_e32 v205, v197, v195
	v_add_f16_e32 v192, v192, v197
	v_sub_f16_e32 v197, v197, v199
	v_fmamk_f16 v208, v202, 0xbb9c, v50
	v_fmac_f16_e32 v50, 0x3b9c, v202
	v_add_f16_e32 v192, v192, v199
	v_add_f16_e32 v205, v205, v206
	v_sub_f16_e32 v199, v193, v194
	v_fmac_f16_e32 v208, 0x38b4, v201
	v_fmac_f16_e32 v50, 0xb8b4, v201
	v_add_f16_e32 v201, v96, v193
	v_add_f16_e32 v192, v192, v200
	v_sub_f16_e32 v200, v195, v200
	v_fmac_f16_e32 v208, 0x34f2, v205
	v_fmac_f16_e32 v50, 0x34f2, v205
	v_add_f16_e32 v201, v201, v194
	v_add_f16_e32 v201, v201, v196
	;; [unrolled: 1-line block ×4, first 2 shown]
	v_fma_f16 v205, -0.5, v201, v96
	v_sub_f16_e32 v201, v198, v196
	v_fmamk_f16 v195, v200, 0xbb9c, v205
	v_fmac_f16_e32 v205, 0x3b9c, v200
	v_add_f16_e32 v199, v199, v201
	v_fmac_f16_e32 v195, 0xb8b4, v197
	v_fmac_f16_e32 v205, 0x38b4, v197
	;; [unrolled: 1-line block ×4, first 2 shown]
	v_add_f16_e32 v199, v193, v198
	v_sub_f16_e32 v193, v194, v193
	v_sub_f16_e32 v194, v196, v198
	v_fmac_f16_e32 v96, -0.5, v199
	v_sub_f16_e32 v199, v180, v181
	v_add_f16_e32 v193, v193, v194
	v_fmamk_f16 v207, v197, 0x3b9c, v96
	v_fmac_f16_e32 v96, 0xbb9c, v197
	v_sub_f16_e32 v197, v178, v179
	v_fmac_f16_e32 v207, 0xb8b4, v200
	v_fmac_f16_e32 v96, 0x38b4, v200
	v_sub_f16_e32 v200, v191, v182
	v_fmac_f16_e32 v207, 0x34f2, v193
	v_fmac_f16_e32 v96, 0x34f2, v193
	v_add_f16_e32 v193, v174, v180
	v_add_f16_e32 v199, v199, v200
	v_sub_f16_e32 v200, v182, v191
	v_add_f16_e32 v193, v193, v181
	v_add_f16_e32 v193, v193, v182
	;; [unrolled: 1-line block ×4, first 2 shown]
	v_fma_f16 v198, -0.5, v193, v174
	v_sub_f16_e32 v193, v177, v190
	v_fmamk_f16 v196, v193, 0x3b9c, v198
	v_fmac_f16_e32 v198, 0xbb9c, v193
	v_fmac_f16_e32 v196, 0x38b4, v197
	;; [unrolled: 1-line block ×5, first 2 shown]
	v_add_f16_e32 v199, v180, v191
	v_mul_f16_e32 v214, 0xb8b4, v196
	v_mul_f16_e32 v213, 0xba79, v198
	v_fmac_f16_e32 v174, -0.5, v199
	v_sub_f16_e32 v199, v181, v180
	v_sub_f16_e32 v180, v180, v191
	;; [unrolled: 1-line block ×4, first 2 shown]
	v_fmamk_f16 v209, v197, 0xbb9c, v174
	v_fmac_f16_e32 v174, 0x3b9c, v197
	v_add_f16_e32 v199, v199, v200
	v_add_f16_e32 v200, v192, v194
	v_fmac_f16_e32 v209, 0x38b4, v193
	v_fmac_f16_e32 v174, 0xb8b4, v193
	v_add_f16_e32 v193, v176, v177
	v_fmac_f16_e32 v209, 0x34f2, v199
	v_fmac_f16_e32 v174, 0x34f2, v199
	v_add_f16_e32 v193, v193, v178
	v_mul_f16_e32 v212, 0xb4f2, v174
	v_add_f16_e32 v193, v193, v179
	v_add_f16_e32 v210, v193, v190
	;; [unrolled: 1-line block ×4, first 2 shown]
	v_fma_f16 v211, -0.5, v193, v176
	v_sub_f16_e32 v193, v190, v179
	v_fmamk_f16 v191, v180, 0xbb9c, v211
	v_fmac_f16_e32 v211, 0x3b9c, v180
	v_add_f16_e32 v182, v182, v193
	v_fmac_f16_e32 v191, 0xb8b4, v181
	v_fmac_f16_e32 v211, 0x38b4, v181
	;; [unrolled: 1-line block ×4, first 2 shown]
	v_add_f16_e32 v182, v177, v190
	v_sub_f16_e32 v177, v178, v177
	v_sub_f16_e32 v178, v179, v190
	v_fmac_f16_e32 v214, 0x3a79, v191
	v_fmac_f16_e32 v213, 0x38b4, v211
	v_fmac_f16_e32 v176, -0.5, v182
	v_add_f16_e32 v177, v177, v178
	v_add_f16_e32 v201, v195, v214
	;; [unrolled: 1-line block ×3, first 2 shown]
	v_fmamk_f16 v182, v181, 0x3b9c, v176
	v_fmac_f16_e32 v176, 0xbb9c, v181
	v_fmac_f16_e32 v182, 0xb8b4, v180
	;; [unrolled: 1-line block ×5, first 2 shown]
	v_mul_f16_e32 v177, 0x38b4, v191
	v_sub_f16_e32 v191, v203, v213
	v_mul_f16_e32 v180, 0x3b9c, v182
	v_fmac_f16_e32 v212, 0x3b9c, v176
	v_mul_f16_e32 v176, 0xb4f2, v176
	v_fmac_f16_e32 v177, 0x3a79, v196
	v_fmac_f16_e32 v180, 0x34f2, v209
	v_mul_f16_e32 v209, 0xbb9c, v209
	v_fmac_f16_e32 v176, 0xbb9c, v174
	v_mul_f16_e32 v174, 0xba79, v211
	v_add_f16_e32 v199, v204, v177
	v_sub_f16_e32 v179, v204, v177
	v_fmac_f16_e32 v209, 0x34f2, v182
	v_add_f16_e32 v196, v96, v176
	v_sub_f16_e32 v96, v96, v176
	v_mov_b32_e32 v176, 0x12c
	v_fmac_f16_e32 v174, 0xb8b4, v198
	v_sub_f16_e32 v182, v192, v194
	v_add_f16_e32 v190, v208, v180
	v_add_f16_e32 v193, v50, v212
	v_mul_u32_u24_sdwa v72, v72, v176 dst_sel:DWORD dst_unused:UNUSED_PAD src0_sel:WORD_0 src1_sel:DWORD
	v_add_f16_e32 v181, v205, v174
	v_sub_f16_e32 v192, v205, v174
	v_mul_u32_u24_sdwa v57, v57, v176 dst_sel:DWORD dst_unused:UNUSED_PAD src0_sel:WORD_0 src1_sel:DWORD
	v_add_f16_e32 v197, v207, v209
	v_add_lshl_u32 v174, v72, v73, 2
	v_pack_b32_f16 v72, v173, v175
	v_pack_b32_f16 v73, v101, v172
	v_add_lshl_u32 v173, v57, v51, 2
	v_pack_b32_f16 v51, v80, v85
	v_add_nc_u32_e32 v177, 0x200, v174
	v_pack_b32_f16 v57, v78, v79
	ds_write2_b32 v174, v72, v73 offset1:30
	v_pack_b32_f16 v72, v98, v100
	v_pack_b32_f16 v73, v97, v99
	v_add_nc_u32_e32 v176, 0x200, v173
	v_sub_f16_e32 v198, v206, v210
	v_sub_f16_e32 v180, v208, v180
	;; [unrolled: 1-line block ×3, first 2 shown]
	ds_write2_b32 v174, v72, v73 offset0:60 offset1:90
	v_pack_b32_f16 v72, v86, v93
	v_pack_b32_f16 v73, v94, v95
	v_sub_f16_e32 v195, v207, v209
	v_sub_f16_e32 v50, v50, v212
	ds_write2_b32 v174, v72, v73 offset0:120 offset1:150
	v_pack_b32_f16 v72, v87, v89
	v_pack_b32_f16 v73, v88, v92
	;; [unrolled: 1-line block ×3, first 2 shown]
	ds_write2_b32 v174, v72, v73 offset0:180 offset1:210
	v_pack_b32_f16 v72, v81, v83
	v_pack_b32_f16 v73, v82, v84
	ds_write2_b32 v177, v72, v73 offset0:112 offset1:142
	ds_write2_b32 v173, v51, v57 offset1:30
	v_pack_b32_f16 v51, v74, v77
	v_pack_b32_f16 v57, v69, v75
	ds_write2_b32 v173, v51, v57 offset0:60 offset1:90
	v_pack_b32_f16 v51, v58, v66
	v_pack_b32_f16 v57, v67, v68
	ds_write2_b32 v173, v51, v57 offset0:120 offset1:150
	;; [unrolled: 3-line block ×4, first 2 shown]
	v_mad_u16 v51, 0x12c, v54, v59
	v_pack_b32_f16 v52, v199, v201
	v_lshlrev_b32_sdwa v172, v91, v51 dst_sel:DWORD dst_unused:UNUSED_PAD src0_sel:DWORD src1_sel:WORD_0
	v_pack_b32_f16 v51, v200, v202
	v_add_nc_u32_e32 v175, 0x200, v172
	ds_write2_b32 v172, v51, v52 offset1:30
	v_pack_b32_f16 v51, v190, v197
	v_pack_b32_f16 v52, v193, v196
	ds_write2_b32 v172, v51, v52 offset0:60 offset1:90
	v_pack_b32_f16 v51, v178, v181
	v_pack_b32_f16 v52, v182, v198
	ds_write2_b32 v172, v51, v52 offset0:120 offset1:150
	;; [unrolled: 3-line block ×3, first 2 shown]
	v_pack_b32_f16 v51, v191, v192
	ds_write2_b32 v175, v50, v51 offset0:112 offset1:142
	s_waitcnt lgkmcnt(0)
	s_barrier
	buffer_gl0_inv
	global_load_dwordx2 v[54:55], v219, s[2:3] offset:1188
	ds_read2_b32 v[50:51], v160 offset0:132 offset1:222
	ds_read2_b32 v[56:57], v153 offset0:8 offset1:98
	;; [unrolled: 1-line block ×10, first 2 shown]
	ds_read2_b32 v[82:83], v156 offset1:90
	ds_read2_b32 v[80:81], v147 offset0:52 offset1:142
	ds_read2_b32 v[78:79], v137 offset0:104 offset1:194
	;; [unrolled: 1-line block ×4, first 2 shown]
	s_waitcnt lgkmcnt(14)
	v_lshrrev_b32_e32 v52, 16, v50
	s_waitcnt lgkmcnt(13)
	v_lshrrev_b32_e32 v53, 16, v56
	v_lshrrev_b32_e32 v58, 16, v51
	v_lshrrev_b32_e32 v59, 16, v57
	s_waitcnt lgkmcnt(12)
	v_lshrrev_b32_e32 v77, 16, v204
	s_waitcnt lgkmcnt(11)
	v_lshrrev_b32_e32 v84, 16, v206
	v_lshrrev_b32_e32 v210, 16, v205
	v_lshrrev_b32_e32 v216, 16, v207
	;; [unrolled: 6-line block ×5, first 2 shown]
	s_waitcnt lgkmcnt(4)
	v_lshrrev_b32_e32 v178, 16, v82
	v_lshrrev_b32_e32 v100, 16, v83
	s_waitcnt lgkmcnt(3)
	v_lshrrev_b32_e32 v99, 16, v80
	v_lshrrev_b32_e32 v98, 16, v81
	;; [unrolled: 3-line block ×5, first 2 shown]
	s_waitcnt vmcnt(0)
	v_mul_f16_sdwa v85, v52, v54 dst_sel:DWORD dst_unused:UNUSED_PAD src0_sel:DWORD src1_sel:WORD_1
	v_mul_f16_sdwa v202, v50, v54 dst_sel:DWORD dst_unused:UNUSED_PAD src0_sel:DWORD src1_sel:WORD_1
	;; [unrolled: 1-line block ×3, first 2 shown]
	v_fma_f16 v200, v50, v54, -v85
	v_mul_f16_sdwa v50, v53, v55 dst_sel:DWORD dst_unused:UNUSED_PAD src0_sel:DWORD src1_sel:WORD_1
	v_fmac_f16_e32 v202, v52, v54
	v_fmac_f16_e32 v203, v53, v55
	v_fma_f16 v201, v56, v55, -v50
	v_lshlrev_b32_e32 v50, 3, v70
	global_load_dwordx2 v[52:53], v50, s[2:3] offset:1188
	v_add_co_u32 v192, s0, s2, v50
	v_add_co_ci_u32_e64 v193, null, s3, 0, s0
	s_waitcnt vmcnt(0)
	v_mul_f16_sdwa v50, v58, v52 dst_sel:DWORD dst_unused:UNUSED_PAD src0_sel:DWORD src1_sel:WORD_1
	v_mul_f16_sdwa v196, v51, v52 dst_sel:DWORD dst_unused:UNUSED_PAD src0_sel:DWORD src1_sel:WORD_1
	;; [unrolled: 1-line block ×3, first 2 shown]
	v_fma_f16 v182, v51, v52, -v50
	v_mul_f16_sdwa v50, v59, v53 dst_sel:DWORD dst_unused:UNUSED_PAD src0_sel:DWORD src1_sel:WORD_1
	v_fmac_f16_e32 v196, v58, v52
	v_fmac_f16_e32 v199, v59, v53
	v_fma_f16 v197, v57, v53, -v50
	v_lshlrev_b32_e32 v50, 3, v76
	v_add_co_u32 v190, s0, s2, v50
	global_load_dwordx2 v[50:51], v50, s[2:3] offset:1188
	v_add_co_ci_u32_e64 v191, null, s3, 0, s0
	s_waitcnt vmcnt(0)
	v_mul_f16_sdwa v56, v77, v50 dst_sel:DWORD dst_unused:UNUSED_PAD src0_sel:DWORD src1_sel:WORD_1
	v_mul_f16_sdwa v198, v206, v51 dst_sel:DWORD dst_unused:UNUSED_PAD src0_sel:DWORD src1_sel:WORD_1
	;; [unrolled: 1-line block ×3, first 2 shown]
	v_fma_f16 v180, v204, v50, -v56
	v_mul_f16_sdwa v56, v84, v51 dst_sel:DWORD dst_unused:UNUSED_PAD src0_sel:DWORD src1_sel:WORD_1
	v_fmac_f16_e32 v198, v84, v51
	v_fmac_f16_e32 v194, v77, v50
	v_fma_f16 v195, v206, v51, -v56
	v_add_co_u32 v56, s0, 0xffffffe2, v154
	v_add_co_ci_u32_e64 v57, null, 0, -1, s0
	v_cndmask_b32_e32 v84, v56, v183, vcc_lo
	v_cndmask_b32_e32 v85, v57, v71, vcc_lo
	v_lshlrev_b64 v[56:57], 3, v[84:85]
	v_add_co_u32 v56, vcc_lo, s2, v56
	v_add_co_ci_u32_e32 v57, vcc_lo, s3, v57, vcc_lo
	v_add_co_u32 v76, vcc_lo, 0x800, v220
	v_add_co_ci_u32_e32 v77, vcc_lo, 0, v221, vcc_lo
	global_load_dwordx2 v[58:59], v[56:57], off offset:1188
	v_cmp_lt_u16_e32 vcc_lo, 29, v90
	s_waitcnt vmcnt(0)
	v_mul_f16_sdwa v56, v210, v58 dst_sel:DWORD dst_unused:UNUSED_PAD src0_sel:DWORD src1_sel:WORD_1
	v_fma_f16 v204, v205, v58, -v56
	v_mul_f16_sdwa v56, v216, v59 dst_sel:DWORD dst_unused:UNUSED_PAD src0_sel:DWORD src1_sel:WORD_1
	v_mul_f16_sdwa v205, v205, v58 dst_sel:DWORD dst_unused:UNUSED_PAD src0_sel:DWORD src1_sel:WORD_1
	v_fma_f16 v206, v207, v59, -v56
	global_load_dwordx2 v[56:57], v219, s[2:3] offset:1668
	v_fmac_f16_e32 v205, v210, v58
	v_mul_f16_sdwa v207, v207, v59 dst_sel:DWORD dst_unused:UNUSED_PAD src0_sel:DWORD src1_sel:WORD_1
	v_fmac_f16_e32 v207, v216, v59
	v_mov_b32_e32 v216, 0x6d3b
	s_waitcnt vmcnt(0)
	v_mul_f16_sdwa v70, v217, v56 dst_sel:DWORD dst_unused:UNUSED_PAD src0_sel:DWORD src1_sel:WORD_1
	v_mul_f16_sdwa v226, v68, v56 dst_sel:DWORD dst_unused:UNUSED_PAD src0_sel:DWORD src1_sel:WORD_1
	v_mul_f16_sdwa v228, v66, v57 dst_sel:DWORD dst_unused:UNUSED_PAD src0_sel:DWORD src1_sel:WORD_1
	v_fma_f16 v210, v68, v56, -v70
	global_load_dwordx2 v[70:71], v[76:77], off offset:340
	v_mul_f16_sdwa v68, v218, v57 dst_sel:DWORD dst_unused:UNUSED_PAD src0_sel:DWORD src1_sel:WORD_1
	v_fmac_f16_e32 v228, v218, v57
	v_fmac_f16_e32 v226, v217, v56
	v_fma_f16 v227, v66, v57, -v68
	s_waitcnt vmcnt(0)
	v_mul_f16_sdwa v66, v179, v70 dst_sel:DWORD dst_unused:UNUSED_PAD src0_sel:DWORD src1_sel:WORD_1
	v_mul_f16_sdwa v235, v67, v71 dst_sel:DWORD dst_unused:UNUSED_PAD src0_sel:DWORD src1_sel:WORD_1
	v_mul_f16_sdwa v233, v69, v70 dst_sel:DWORD dst_unused:UNUSED_PAD src0_sel:DWORD src1_sel:WORD_1
	v_fma_f16 v232, v69, v70, -v66
	v_mul_f16_sdwa v66, v101, v71 dst_sel:DWORD dst_unused:UNUSED_PAD src0_sel:DWORD src1_sel:WORD_1
	v_fmac_f16_e32 v235, v101, v71
	v_fmac_f16_e32 v233, v179, v70
	v_fma_f16 v234, v67, v71, -v66
	v_lshrrev_b16 v66, 2, v186
	v_mul_u32_u24_sdwa v66, v66, v216 dst_sel:DWORD dst_unused:UNUSED_PAD src0_sel:WORD_0 src1_sel:DWORD
	v_lshrrev_b32_e32 v101, 21, v66
	v_mul_lo_u16 v66, 0x12c, v101
	v_sub_nc_u16 v179, v186, v66
	v_lshlrev_b16 v66, 3, v179
	v_and_b32_e32 v66, 0xffff, v66
	v_add_co_u32 v66, s0, s2, v66
	v_add_co_ci_u32_e64 v67, null, s3, 0, s0
	global_load_dwordx2 v[68:69], v[66:67], off offset:1188
	s_waitcnt vmcnt(0)
	v_mul_f16_sdwa v66, v215, v68 dst_sel:DWORD dst_unused:UNUSED_PAD src0_sel:DWORD src1_sel:WORD_1
	v_mul_f16_sdwa v237, v64, v68 dst_sel:DWORD dst_unused:UNUSED_PAD src0_sel:DWORD src1_sel:WORD_1
	v_mul_f16_sdwa v239, v62, v69 dst_sel:DWORD dst_unused:UNUSED_PAD src0_sel:DWORD src1_sel:WORD_1
	v_fma_f16 v236, v64, v68, -v66
	v_mul_f16_sdwa v64, v181, v69 dst_sel:DWORD dst_unused:UNUSED_PAD src0_sel:DWORD src1_sel:WORD_1
	v_fmac_f16_e32 v239, v181, v69
	v_fmac_f16_e32 v237, v215, v68
	v_fma_f16 v238, v62, v69, -v64
	v_lshrrev_b16 v62, 2, v187
	v_mul_u32_u24_sdwa v62, v62, v216 dst_sel:DWORD dst_unused:UNUSED_PAD src0_sel:WORD_0 src1_sel:DWORD
	v_lshrrev_b32_e32 v62, 21, v62
	v_mul_lo_u16 v62, 0x12c, v62
	v_sub_nc_u16 v181, v187, v62
	v_lshlrev_b16 v62, 3, v181
	v_and_b32_e32 v62, 0xffff, v62
	v_add_co_u32 v66, s0, s2, v62
	v_add_co_ci_u32_e64 v67, null, s3, 0, s0
	global_load_dwordx2 v[66:67], v[66:67], off offset:1188
	;; [unrolled: 19-line block ×3, first 2 shown]
	s_waitcnt vmcnt(0)
	v_mul_f16_sdwa v62, v212, v64 dst_sel:DWORD dst_unused:UNUSED_PAD src0_sel:DWORD src1_sel:WORD_1
	v_mul_f16_sdwa v246, v86, v65 dst_sel:DWORD dst_unused:UNUSED_PAD src0_sel:DWORD src1_sel:WORD_1
	v_fma_f16 v244, v88, v64, -v62
	v_mul_f16_sdwa v62, v211, v65 dst_sel:DWORD dst_unused:UNUSED_PAD src0_sel:DWORD src1_sel:WORD_1
	v_fmac_f16_e32 v246, v211, v65
	v_mul_f16_sdwa v88, v88, v64 dst_sel:DWORD dst_unused:UNUSED_PAD src0_sel:DWORD src1_sel:WORD_1
	v_fma_f16 v245, v86, v65, -v62
	v_lshrrev_b16 v62, 2, v189
	v_fmac_f16_e32 v88, v212, v64
	v_mul_u32_u24_sdwa v62, v62, v216 dst_sel:DWORD dst_unused:UNUSED_PAD src0_sel:WORD_0 src1_sel:DWORD
	v_lshrrev_b32_e32 v62, 21, v62
	v_mul_lo_u16 v62, 0x12c, v62
	v_sub_nc_u16 v86, v189, v62
	v_lshlrev_b16 v62, 3, v86
	v_and_b32_e32 v62, 0xffff, v62
	v_add_co_u32 v62, s0, s2, v62
	v_add_co_ci_u32_e64 v63, null, s3, 0, s0
	global_load_dwordx2 v[62:63], v[62:63], off offset:1188
	s_waitcnt vmcnt(0)
	s_barrier
	buffer_gl0_inv
	v_mul_f16_sdwa v211, v209, v62 dst_sel:DWORD dst_unused:UNUSED_PAD src0_sel:DWORD src1_sel:WORD_1
	v_mul_f16_sdwa v248, v89, v62 dst_sel:DWORD dst_unused:UNUSED_PAD src0_sel:DWORD src1_sel:WORD_1
	;; [unrolled: 1-line block ×3, first 2 shown]
	v_fma_f16 v247, v89, v62, -v211
	v_mul_f16_sdwa v89, v208, v63 dst_sel:DWORD dst_unused:UNUSED_PAD src0_sel:DWORD src1_sel:WORD_1
	v_fmac_f16_e32 v250, v208, v63
	v_fmac_f16_e32 v248, v209, v62
	v_fma_f16 v249, v87, v63, -v89
	v_add_f16_e32 v87, v82, v200
	v_sub_f16_e32 v89, v248, v250
	v_add_f16_e32 v212, v87, v201
	v_add_f16_e32 v87, v200, v201
	v_fma_f16 v211, -0.5, v87, v82
	v_sub_f16_e32 v82, v202, v203
	v_fmamk_f16 v213, v82, 0x3aee, v211
	v_fmac_f16_e32 v211, 0xbaee, v82
	v_add_f16_e32 v82, v178, v202
	v_add_f16_e32 v214, v82, v203
	;; [unrolled: 1-line block ×3, first 2 shown]
	v_pack_b32_f16 v212, v212, v214
	v_fmac_f16_e32 v178, -0.5, v82
	v_sub_f16_e32 v82, v200, v201
	v_fmamk_f16 v231, v82, 0xbaee, v178
	v_fmac_f16_e32 v178, 0x3aee, v82
	v_add_f16_e32 v82, v83, v182
	v_pack_b32_f16 v213, v213, v231
	v_pack_b32_f16 v178, v211, v178
	v_add_f16_e32 v229, v82, v197
	v_add_f16_e32 v82, v182, v197
	ds_write_b32 v156, v213 offset:1200
	ds_write_b32 v156, v178 offset:2400
	v_fmac_f16_e32 v83, -0.5, v82
	v_sub_f16_e32 v82, v196, v199
	v_fmamk_f16 v224, v82, 0x3aee, v83
	v_fmac_f16_e32 v83, 0xbaee, v82
	v_add_f16_e32 v82, v100, v196
	v_add_f16_e32 v230, v82, v199
	;; [unrolled: 1-line block ×3, first 2 shown]
	v_pack_b32_f16 v178, v229, v230
	v_fmac_f16_e32 v100, -0.5, v82
	v_sub_f16_e32 v82, v182, v197
	ds_write2_b32 v156, v212, v178 offset1:90
	v_fmamk_f16 v225, v82, 0xbaee, v100
	v_fmac_f16_e32 v100, 0x3aee, v82
	v_add_f16_e32 v82, v80, v180
	v_pack_b32_f16 v178, v224, v225
	v_pack_b32_f16 v83, v83, v100
	v_add_f16_e32 v222, v82, v195
	v_add_f16_e32 v82, v180, v195
	v_fma_f16 v215, -0.5, v82, v80
	v_sub_f16_e32 v80, v194, v198
	v_add_f16_e32 v82, v88, v246
	v_fmamk_f16 v218, v80, 0x3aee, v215
	v_fmac_f16_e32 v215, 0xbaee, v80
	v_add_f16_e32 v80, v99, v194
	v_add_f16_e32 v223, v80, v198
	;; [unrolled: 1-line block ×4, first 2 shown]
	v_pack_b32_f16 v100, v222, v223
	v_fmac_f16_e32 v99, -0.5, v80
	v_sub_f16_e32 v80, v180, v195
	ds_write_b32 v156, v100 offset:720
	v_fmamk_f16 v221, v80, 0xbaee, v99
	v_fmac_f16_e32 v99, 0x3aee, v80
	v_add_f16_e32 v80, v81, v204
	v_pack_b32_f16 v100, v218, v221
	v_pack_b32_f16 v99, v215, v99
	v_add_f16_e32 v216, v80, v206
	v_add_f16_e32 v80, v204, v206
	ds_write2_b32 v137, v178, v100 offset0:134 offset1:224
	ds_write2_b32 v120, v83, v99 offset0:50 offset1:140
	v_cndmask_b32_e64 v83, 0, 0x384, vcc_lo
	v_fmac_f16_e32 v81, -0.5, v80
	v_sub_f16_e32 v80, v205, v207
	v_add_lshl_u32 v178, v84, v83, 2
	v_fmamk_f16 v217, v80, 0x3aee, v81
	v_fmac_f16_e32 v81, 0xbaee, v80
	v_add_f16_e32 v80, v98, v205
	v_add_f16_e32 v219, v80, v207
	;; [unrolled: 1-line block ×3, first 2 shown]
	v_pack_b32_f16 v83, v216, v219
	v_fmac_f16_e32 v98, -0.5, v80
	v_sub_f16_e32 v80, v204, v206
	ds_write_b32 v178, v83
	v_fmamk_f16 v220, v80, 0xbaee, v98
	v_fmac_f16_e32 v98, 0x3aee, v80
	v_add_f16_e32 v80, v78, v210
	v_pack_b32_f16 v83, v217, v220
	v_pack_b32_f16 v81, v81, v98
	v_add_f16_e32 v206, v80, v227
	v_add_f16_e32 v80, v210, v227
	ds_write_b32 v178, v83 offset:1200
	ds_write_b32 v178, v81 offset:2400
	v_fma_f16 v207, -0.5, v80, v78
	v_sub_f16_e32 v78, v226, v228
	v_sub_f16_e32 v80, v88, v246
	v_fmamk_f16 v208, v78, 0x3aee, v207
	v_fmac_f16_e32 v207, 0xbaee, v78
	v_add_f16_e32 v78, v97, v226
	v_add_f16_e32 v209, v78, v228
	;; [unrolled: 1-line block ×3, first 2 shown]
	v_sub_f16_e32 v226, v247, v249
	v_pack_b32_f16 v81, v206, v209
	v_fmac_f16_e32 v97, -0.5, v78
	v_sub_f16_e32 v78, v210, v227
	v_fmamk_f16 v210, v78, 0xbaee, v97
	v_fmac_f16_e32 v97, 0x3aee, v78
	v_add_f16_e32 v78, v79, v232
	v_pack_b32_f16 v83, v208, v210
	v_pack_b32_f16 v84, v207, v97
	v_add_f16_e32 v204, v78, v234
	v_add_f16_e32 v78, v232, v234
	v_fmac_f16_e32 v79, -0.5, v78
	v_sub_f16_e32 v78, v233, v235
	v_fmamk_f16 v180, v78, 0x3aee, v79
	v_fmac_f16_e32 v79, 0xbaee, v78
	v_add_f16_e32 v78, v96, v233
	v_add_f16_e32 v205, v78, v235
	;; [unrolled: 1-line block ×3, first 2 shown]
	v_pack_b32_f16 v90, v204, v205
	v_fmac_f16_e32 v96, -0.5, v78
	v_sub_f16_e32 v78, v232, v234
	ds_write2_b32 v157, v81, v90 offset0:64 offset1:154
	v_fmamk_f16 v203, v78, 0xbaee, v96
	v_fmac_f16_e32 v96, 0x3aee, v78
	v_add_f16_e32 v78, v74, v236
	v_pack_b32_f16 v81, v180, v203
	v_pack_b32_f16 v79, v79, v96
	v_add_f16_e32 v195, v78, v238
	v_add_f16_e32 v78, v236, v238
	ds_write2_b32 v140, v83, v81 offset0:108 offset1:198
	ds_write2_b32 v121, v84, v79 offset0:24 offset1:114
	v_mad_u16 v79, 0x384, v101, v179
	v_fma_f16 v182, -0.5, v78, v74
	v_sub_f16_e32 v74, v237, v239
	v_add_f16_e32 v78, v244, v245
	v_lshlrev_b32_sdwa v179, v91, v181 dst_sel:DWORD dst_unused:UNUSED_PAD src0_sel:DWORD src1_sel:WORD_0
	v_lshlrev_b32_sdwa v180, v91, v79 dst_sel:DWORD dst_unused:UNUSED_PAD src0_sel:DWORD src1_sel:WORD_0
	;; [unrolled: 1-line block ×3, first 2 shown]
	v_fmamk_f16 v196, v74, 0x3aee, v182
	v_fmac_f16_e32 v182, 0xbaee, v74
	v_add_f16_e32 v74, v95, v237
	v_add_f16_e32 v197, v74, v239
	;; [unrolled: 1-line block ×3, first 2 shown]
	v_pack_b32_f16 v79, v195, v197
	v_fmac_f16_e32 v95, -0.5, v74
	v_sub_f16_e32 v74, v236, v238
	ds_write_b32 v180, v79
	v_fmamk_f16 v199, v74, 0xbaee, v95
	v_fmac_f16_e32 v95, 0x3aee, v74
	v_add_f16_e32 v74, v75, v240
	v_pack_b32_f16 v79, v196, v199
	v_add_f16_e32 v198, v74, v242
	v_add_f16_e32 v74, v240, v242
	ds_write_b32 v180, v79 offset:1200
	v_pack_b32_f16 v79, v182, v95
	v_lshlrev_b32_sdwa v182, v91, v85 dst_sel:DWORD dst_unused:UNUSED_PAD src0_sel:DWORD src1_sel:WORD_0
	v_fmac_f16_e32 v75, -0.5, v74
	v_sub_f16_e32 v74, v241, v243
	ds_write_b32 v180, v79 offset:2400
	v_fmamk_f16 v200, v74, 0x3aee, v75
	v_fmac_f16_e32 v75, 0xbaee, v74
	v_add_f16_e32 v74, v94, v241
	v_add_f16_e32 v201, v74, v243
	;; [unrolled: 1-line block ×3, first 2 shown]
	v_pack_b32_f16 v79, v198, v201
	v_fmac_f16_e32 v94, -0.5, v74
	v_sub_f16_e32 v74, v240, v242
	ds_write_b32 v179, v79 offset:7200
	v_fmamk_f16 v202, v74, 0xbaee, v94
	v_fmac_f16_e32 v94, 0x3aee, v74
	v_add_f16_e32 v74, v72, v244
	v_fma_f16 v72, -0.5, v78, v72
	v_pack_b32_f16 v79, v200, v202
	v_pack_b32_f16 v75, v75, v94
	v_add_f16_e32 v74, v74, v245
	v_fmamk_f16 v78, v80, 0x3aee, v72
	v_fmac_f16_e32 v72, 0xbaee, v80
	v_add_f16_e32 v80, v93, v88
	v_fmac_f16_e32 v93, -0.5, v82
	v_sub_f16_e32 v82, v244, v245
	v_add_f16_e32 v88, v247, v249
	ds_write_b32 v179, v75 offset:9600
	v_add_f16_e32 v80, v80, v246
	ds_write_b32 v179, v79 offset:8400
	v_fmamk_f16 v87, v82, 0xbaee, v93
	v_fmac_f16_e32 v93, 0x3aee, v82
	v_add_f16_e32 v82, v73, v247
	v_fmac_f16_e32 v73, -0.5, v88
	v_pack_b32_f16 v74, v74, v80
	v_pack_b32_f16 v72, v72, v93
	v_add_f16_e32 v82, v82, v249
	v_fmamk_f16 v88, v89, 0x3aee, v73
	v_fmac_f16_e32 v73, 0xbaee, v89
	v_add_f16_e32 v89, v92, v248
	v_fmac_f16_e32 v92, -0.5, v194
	ds_write_b32 v182, v72 offset:9600
	ds_write_b32 v182, v74 offset:7200
	v_pack_b32_f16 v74, v78, v87
	v_add_f16_e32 v89, v89, v250
	v_fmamk_f16 v194, v226, 0xbaee, v92
	v_fmac_f16_e32 v92, 0x3aee, v226
	ds_write_b32 v182, v74 offset:8400
	v_pack_b32_f16 v72, v82, v89
	ds_write_b32 v181, v72 offset:7200
	v_pack_b32_f16 v72, v88, v194
	;; [unrolled: 2-line block ×3, first 2 shown]
	ds_write_b32 v181, v72 offset:9600
	s_waitcnt lgkmcnt(0)
	s_barrier
	buffer_gl0_inv
	global_load_dwordx2 v[72:73], v[76:77], off offset:1540
	ds_read2_b32 v[74:75], v160 offset0:132 offset1:222
	ds_read2_b32 v[78:79], v153 offset0:8 offset1:98
	;; [unrolled: 1-line block ×10, first 2 shown]
	ds_read2_b32 v[100:101], v156 offset1:90
	ds_read2_b32 v[98:99], v147 offset0:52 offset1:142
	ds_read2_b32 v[96:97], v137 offset0:104 offset1:194
	;; [unrolled: 1-line block ×4, first 2 shown]
	s_waitcnt lgkmcnt(14)
	v_lshrrev_b32_e32 v84, 16, v74
	s_waitcnt lgkmcnt(13)
	v_lshrrev_b32_e32 v85, 16, v78
	v_lshrrev_b32_e32 v86, 16, v75
	v_lshrrev_b32_e32 v87, 16, v79
	s_waitcnt lgkmcnt(12)
	v_lshrrev_b32_e32 v210, 16, v80
	s_waitcnt lgkmcnt(11)
	v_lshrrev_b32_e32 v212, 16, v82
	v_lshrrev_b32_e32 v213, 16, v81
	v_lshrrev_b32_e32 v227, 16, v83
	;; [unrolled: 6-line block ×5, first 2 shown]
	s_waitcnt lgkmcnt(4)
	v_lshrrev_b32_e32 v203, 16, v100
	v_lshrrev_b32_e32 v202, 16, v101
	s_waitcnt lgkmcnt(3)
	v_lshrrev_b32_e32 v201, 16, v98
	v_lshrrev_b32_e32 v200, 16, v99
	s_waitcnt lgkmcnt(2)
	v_lshrrev_b32_e32 v199, 16, v96
	v_lshrrev_b32_e32 v198, 16, v97
	s_waitcnt lgkmcnt(1)
	v_lshrrev_b32_e32 v197, 16, v94
	v_lshrrev_b32_e32 v196, 16, v95
	s_waitcnt lgkmcnt(0)
	v_lshrrev_b32_e32 v195, 16, v92
	v_lshrrev_b32_e32 v194, 16, v93
	s_waitcnt vmcnt(0)
	v_mul_f16_sdwa v76, v84, v72 dst_sel:DWORD dst_unused:UNUSED_PAD src0_sel:DWORD src1_sel:WORD_1
	v_mul_f16_sdwa v206, v74, v72 dst_sel:DWORD dst_unused:UNUSED_PAD src0_sel:DWORD src1_sel:WORD_1
	;; [unrolled: 1-line block ×3, first 2 shown]
	v_fma_f16 v204, v74, v72, -v76
	v_add_co_u32 v76, vcc_lo, 0x800, v192
	v_add_co_ci_u32_e32 v77, vcc_lo, 0, v193, vcc_lo
	v_mul_f16_sdwa v74, v85, v73 dst_sel:DWORD dst_unused:UNUSED_PAD src0_sel:DWORD src1_sel:WORD_1
	v_fmac_f16_e32 v206, v84, v72
	v_fmac_f16_e32 v207, v85, v73
	global_load_dwordx2 v[88:89], v[76:77], off offset:1540
	v_fma_f16 v205, v78, v73, -v74
	s_waitcnt vmcnt(0)
	v_mul_f16_sdwa v74, v86, v88 dst_sel:DWORD dst_unused:UNUSED_PAD src0_sel:DWORD src1_sel:WORD_1
	v_mul_f16_sdwa v193, v75, v88 dst_sel:DWORD dst_unused:UNUSED_PAD src0_sel:DWORD src1_sel:WORD_1
	;; [unrolled: 1-line block ×3, first 2 shown]
	v_fma_f16 v192, v75, v88, -v74
	v_mul_f16_sdwa v74, v87, v89 dst_sel:DWORD dst_unused:UNUSED_PAD src0_sel:DWORD src1_sel:WORD_1
	v_fmac_f16_e32 v193, v86, v88
	v_fmac_f16_e32 v209, v87, v89
	v_fma_f16 v208, v79, v89, -v74
	v_add_co_u32 v74, vcc_lo, 0x800, v190
	v_add_co_ci_u32_e32 v75, vcc_lo, 0, v191, vcc_lo
	global_load_dwordx2 v[90:91], v[74:75], off offset:1540
	s_waitcnt vmcnt(0)
	v_mul_f16_sdwa v74, v210, v90 dst_sel:DWORD dst_unused:UNUSED_PAD src0_sel:DWORD src1_sel:WORD_1
	v_mul_f16_sdwa v191, v80, v90 dst_sel:DWORD dst_unused:UNUSED_PAD src0_sel:DWORD src1_sel:WORD_1
	v_mul_f16_sdwa v211, v82, v91 dst_sel:DWORD dst_unused:UNUSED_PAD src0_sel:DWORD src1_sel:WORD_1
	v_fma_f16 v190, v80, v90, -v74
	v_mul_f16_sdwa v74, v212, v91 dst_sel:DWORD dst_unused:UNUSED_PAD src0_sel:DWORD src1_sel:WORD_1
	v_fmac_f16_e32 v191, v210, v90
	v_fmac_f16_e32 v211, v212, v91
	v_fma_f16 v210, v82, v91, -v74
	v_lshlrev_b32_e32 v74, 3, v183
	v_add_co_u32 v74, s0, s2, v74
	v_add_co_ci_u32_e64 v75, null, s3, 0, s0
	v_add_co_u32 v74, vcc_lo, 0x800, v74
	v_add_co_ci_u32_e32 v75, vcc_lo, 0, v75, vcc_lo
	global_load_dwordx2 v[86:87], v[74:75], off offset:1540
	s_waitcnt vmcnt(0)
	v_mul_f16_sdwa v74, v213, v86 dst_sel:DWORD dst_unused:UNUSED_PAD src0_sel:DWORD src1_sel:WORD_1
	v_mul_f16_sdwa v212, v81, v86 dst_sel:DWORD dst_unused:UNUSED_PAD src0_sel:DWORD src1_sel:WORD_1
	v_mul_f16_sdwa v214, v83, v87 dst_sel:DWORD dst_unused:UNUSED_PAD src0_sel:DWORD src1_sel:WORD_1
	v_fma_f16 v183, v81, v86, -v74
	v_mul_f16_sdwa v74, v227, v87 dst_sel:DWORD dst_unused:UNUSED_PAD src0_sel:DWORD src1_sel:WORD_1
	v_fmac_f16_e32 v212, v213, v86
	v_fmac_f16_e32 v214, v227, v87
	v_fma_f16 v213, v83, v87, -v74
	v_lshlrev_b32_e32 v74, 3, v184
	v_add_co_u32 v74, s0, s2, v74
	v_add_co_ci_u32_e64 v75, null, s3, 0, s0
	;; [unrolled: 15-line block ×7, first 2 shown]
	s_mov_b32 s2, 0xa0ce5129
	v_add_co_u32 v74, vcc_lo, 0x800, v74
	v_add_co_ci_u32_e32 v75, vcc_lo, 0, v75, vcc_lo
	s_mov_b32 s3, 0x3f3845c8
	global_load_dwordx2 v[74:75], v[74:75], off offset:1540
	s_waitcnt vmcnt(0)
	v_mul_f16_sdwa v187, v245, v74 dst_sel:DWORD dst_unused:UNUSED_PAD src0_sel:DWORD src1_sel:WORD_1
	v_mul_f16_sdwa v238, v224, v74 dst_sel:DWORD dst_unused:UNUSED_PAD src0_sel:DWORD src1_sel:WORD_1
	;; [unrolled: 1-line block ×3, first 2 shown]
	v_fma_f16 v232, v224, v74, -v187
	v_mul_f16_sdwa v187, v252, v75 dst_sel:DWORD dst_unused:UNUSED_PAD src0_sel:DWORD src1_sel:WORD_1
	v_fmac_f16_e32 v238, v245, v74
	v_fmac_f16_e32 v251, v252, v75
	v_fma_f16 v244, v226, v75, -v187
	v_add_f16_e32 v187, v100, v204
	v_add_f16_e32 v245, v187, v205
	;; [unrolled: 1-line block ×3, first 2 shown]
	v_fma_f16 v227, -0.5, v187, v100
	v_sub_f16_e32 v100, v206, v207
	v_fmamk_f16 v229, v100, 0x3aee, v227
	v_fmac_f16_e32 v227, 0xbaee, v100
	v_add_f16_e32 v100, v203, v206
	v_add_f16_e32 v253, v100, v207
	;; [unrolled: 1-line block ×3, first 2 shown]
	v_fmac_f16_e32 v203, -0.5, v100
	v_sub_f16_e32 v100, v204, v205
	v_fmamk_f16 v252, v100, 0xbaee, v203
	v_fmac_f16_e32 v203, 0x3aee, v100
	v_add_f16_e32 v100, v101, v192
	v_pack_b32_f16 v229, v229, v252
	v_pack_b32_f16 v203, v227, v203
	v_add_f16_e32 v226, v100, v208
	v_add_f16_e32 v100, v192, v208
	ds_write_b32 v156, v229 offset:3600
	ds_write_b32 v156, v203 offset:7200
	v_fmac_f16_e32 v101, -0.5, v100
	v_sub_f16_e32 v100, v193, v209
	v_fmamk_f16 v224, v100, 0x3aee, v101
	v_fmac_f16_e32 v101, 0xbaee, v100
	v_add_f16_e32 v100, v202, v193
	v_add_f16_e32 v228, v100, v209
	;; [unrolled: 1-line block ×3, first 2 shown]
	v_pack_b32_f16 v203, v226, v228
	v_fmac_f16_e32 v202, -0.5, v100
	v_sub_f16_e32 v100, v192, v208
	v_fmamk_f16 v225, v100, 0xbaee, v202
	v_fmac_f16_e32 v202, 0x3aee, v100
	v_add_f16_e32 v100, v98, v190
	v_pack_b32_f16 v101, v101, v202
	v_add_f16_e32 v222, v100, v210
	v_add_f16_e32 v100, v190, v210
	v_fma_f16 v219, -0.5, v100, v98
	v_sub_f16_e32 v98, v191, v211
	v_fmamk_f16 v220, v98, 0x3aee, v219
	v_fmac_f16_e32 v219, 0xbaee, v98
	v_add_f16_e32 v98, v201, v191
	v_add_f16_e32 v223, v98, v211
	;; [unrolled: 1-line block ×3, first 2 shown]
	v_pack_b32_f16 v202, v222, v223
	v_fmac_f16_e32 v201, -0.5, v98
	v_sub_f16_e32 v98, v190, v210
	v_fmamk_f16 v221, v98, 0xbaee, v201
	v_fmac_f16_e32 v201, 0x3aee, v98
	v_add_f16_e32 v98, v99, v183
	v_pack_b32_f16 v220, v220, v221
	v_pack_b32_f16 v201, v219, v201
	v_add_f16_e32 v215, v98, v213
	v_add_f16_e32 v98, v183, v213
	v_fmac_f16_e32 v99, -0.5, v98
	v_sub_f16_e32 v98, v212, v214
	v_fmamk_f16 v216, v98, 0x3aee, v99
	v_fmac_f16_e32 v99, 0xbaee, v98
	v_add_f16_e32 v98, v200, v212
	v_add_f16_e32 v217, v98, v214
	;; [unrolled: 1-line block ×3, first 2 shown]
	v_fmac_f16_e32 v200, -0.5, v98
	v_sub_f16_e32 v98, v183, v213
	v_fmamk_f16 v218, v98, 0xbaee, v200
	v_fmac_f16_e32 v200, 0x3aee, v98
	v_add_f16_e32 v98, v96, v184
	v_pack_b32_f16 v99, v99, v200
	v_add_f16_e32 v213, v98, v239
	v_add_f16_e32 v98, v184, v239
	v_fma_f16 v210, -0.5, v98, v96
	v_sub_f16_e32 v96, v233, v246
	v_add_f16_e32 v98, v238, v251
	v_fmamk_f16 v211, v96, 0x3aee, v210
	v_fmac_f16_e32 v210, 0xbaee, v96
	v_add_f16_e32 v96, v199, v233
	v_add_f16_e32 v214, v96, v246
	;; [unrolled: 1-line block ×3, first 2 shown]
	v_pack_b32_f16 v200, v213, v214
	v_fmac_f16_e32 v199, -0.5, v96
	v_sub_f16_e32 v96, v184, v239
	v_fmamk_f16 v212, v96, 0xbaee, v199
	v_fmac_f16_e32 v199, 0x3aee, v96
	v_add_f16_e32 v96, v97, v185
	v_add_f16_e32 v206, v96, v240
	;; [unrolled: 1-line block ×3, first 2 shown]
	v_fmac_f16_e32 v97, -0.5, v96
	v_sub_f16_e32 v96, v234, v247
	v_fmamk_f16 v207, v96, 0x3aee, v97
	v_fmac_f16_e32 v97, 0xbaee, v96
	v_add_f16_e32 v96, v198, v234
	v_add_f16_e32 v208, v96, v247
	;; [unrolled: 1-line block ×3, first 2 shown]
	v_fmac_f16_e32 v198, -0.5, v96
	v_sub_f16_e32 v96, v185, v240
	v_fmamk_f16 v209, v96, 0xbaee, v198
	v_fmac_f16_e32 v198, 0x3aee, v96
	v_add_f16_e32 v96, v94, v186
	v_pack_b32_f16 v97, v97, v198
	v_add_f16_e32 v204, v96, v241
	v_add_f16_e32 v96, v186, v241
	v_fma_f16 v191, -0.5, v96, v94
	v_sub_f16_e32 v94, v235, v248
	v_sub_f16_e32 v96, v238, v251
	v_fmamk_f16 v192, v94, 0x3aee, v191
	v_fmac_f16_e32 v191, 0xbaee, v94
	v_add_f16_e32 v94, v197, v235
	v_add_f16_e32 v205, v94, v248
	;; [unrolled: 1-line block ×3, first 2 shown]
	v_fmac_f16_e32 v197, -0.5, v94
	v_sub_f16_e32 v94, v186, v241
	v_fmamk_f16 v193, v94, 0xbaee, v197
	v_fmac_f16_e32 v197, 0x3aee, v94
	v_add_f16_e32 v94, v95, v230
	v_pack_b32_f16 v192, v192, v193
	v_add_f16_e32 v187, v94, v242
	v_add_f16_e32 v94, v230, v242
	v_fmac_f16_e32 v95, -0.5, v94
	v_sub_f16_e32 v94, v236, v249
	v_fmamk_f16 v188, v94, 0x3aee, v95
	v_fmac_f16_e32 v95, 0xbaee, v94
	v_add_f16_e32 v94, v196, v236
	v_add_f16_e32 v189, v94, v249
	;; [unrolled: 1-line block ×3, first 2 shown]
	v_fmac_f16_e32 v196, -0.5, v94
	v_sub_f16_e32 v94, v230, v242
	v_sub_f16_e32 v230, v232, v244
	v_fmamk_f16 v190, v94, 0xbaee, v196
	v_fmac_f16_e32 v196, 0x3aee, v94
	v_add_f16_e32 v94, v92, v231
	v_pack_b32_f16 v95, v95, v196
	v_add_f16_e32 v185, v94, v243
	v_add_f16_e32 v94, v231, v243
	v_fma_f16 v100, -0.5, v94, v92
	v_sub_f16_e32 v92, v237, v250
	v_add_f16_e32 v94, v232, v244
	v_fmamk_f16 v183, v92, 0x3aee, v100
	v_fmac_f16_e32 v100, 0xbaee, v92
	v_add_f16_e32 v92, v195, v237
	v_add_f16_e32 v186, v92, v250
	;; [unrolled: 1-line block ×3, first 2 shown]
	v_fmac_f16_e32 v195, -0.5, v92
	v_sub_f16_e32 v92, v231, v243
	v_fmamk_f16 v184, v92, 0xbaee, v195
	v_fmac_f16_e32 v195, 0x3aee, v92
	v_add_f16_e32 v92, v93, v232
	v_fmac_f16_e32 v93, -0.5, v94
	v_add_f16_e32 v92, v92, v244
	v_fmamk_f16 v94, v96, 0x3aee, v93
	v_fmac_f16_e32 v93, 0xbaee, v96
	v_add_f16_e32 v96, v194, v238
	v_fmac_f16_e32 v194, -0.5, v98
	v_add_f16_e32 v96, v96, v251
	v_fmamk_f16 v98, v230, 0xbaee, v194
	v_fmac_f16_e32 v194, 0x3aee, v230
	v_pack_b32_f16 v230, v245, v253
	v_pack_b32_f16 v92, v92, v96
	v_add_co_u32 v96, vcc_lo, 0x2a30, v102
	ds_write2_b32 v156, v230, v203 offset1:90
	ds_write2_b32 v153, v101, v201 offset0:98 offset1:188
	v_pack_b32_f16 v101, v215, v217
	v_pack_b32_f16 v201, v211, v212
	;; [unrolled: 1-line block ×3, first 2 shown]
	ds_write2_b32 v147, v202, v101 offset0:52 offset1:142
	v_pack_b32_f16 v101, v216, v218
	ds_write2_b32 v157, v203, v220 offset0:94 offset1:184
	ds_write2_b32 v145, v101, v201 offset0:146 offset1:236
	v_pack_b32_f16 v101, v210, v199
	ds_write2_b32 v134, v99, v101 offset0:22 offset1:112
	v_pack_b32_f16 v99, v206, v208
	v_pack_b32_f16 v101, v204, v205
	ds_write2_b32 v137, v200, v99 offset0:104 offset1:194
	v_pack_b32_f16 v99, v207, v209
	ds_write2_b32 v127, v99, v192 offset0:70 offset1:160
	;; [unrolled: 2-line block ×3, first 2 shown]
	v_pack_b32_f16 v97, v187, v189
	v_pack_b32_f16 v99, v185, v186
	ds_write2_b32 v129, v101, v97 offset0:28 offset1:118
	v_pack_b32_f16 v97, v188, v190
	v_pack_b32_f16 v101, v183, v184
	ds_write2_b32 v120, v99, v92 offset0:80 offset1:170
	v_pack_b32_f16 v92, v94, v98
	ds_write2_b32 v159, v97, v101 offset0:122 offset1:212
	v_pack_b32_f16 v97, v100, v195
	ds_write_b32 v156, v92 offset:6840
	v_pack_b32_f16 v92, v93, v194
	ds_write2_b32 v126, v95, v97 offset0:126 offset1:216
	v_add_co_ci_u32_e32 v97, vcc_lo, 0, v103, vcc_lo
	ds_write_b32 v156, v92 offset:10440
	s_waitcnt lgkmcnt(0)
	s_barrier
	buffer_gl0_inv
	global_load_dword v60, v[60:61], off offset:560
	ds_read2_b32 v[92:93], v156 offset1:90
	s_waitcnt lgkmcnt(0)
	v_lshrrev_b32_e32 v94, 16, v92
	s_waitcnt vmcnt(0)
	v_mul_f16_sdwa v61, v94, v60 dst_sel:DWORD dst_unused:UNUSED_PAD src0_sel:DWORD src1_sel:WORD_1
	v_fma_f16 v61, v92, v60, -v61
	v_mul_f16_sdwa v92, v92, v60 dst_sel:DWORD dst_unused:UNUSED_PAD src0_sel:DWORD src1_sel:WORD_1
	v_fmac_f16_e32 v92, v94, v60
	v_add_co_u32 v94, vcc_lo, 0x3800, v102
	v_add_co_ci_u32_e32 v95, vcc_lo, 0, v103, vcc_lo
	v_pack_b32_f16 v60, v61, v92
	global_load_dword v61, v[94:95], off offset:64
	ds_write_b32 v156, v60
	ds_read2_b32 v[99:100], v160 offset0:132 offset1:222
	ds_read2_b32 v[183:184], v153 offset0:8 offset1:98
	s_waitcnt lgkmcnt(1)
	v_lshrrev_b32_e32 v60, 16, v99
	s_waitcnt vmcnt(0)
	v_mul_f16_sdwa v98, v99, v61 dst_sel:DWORD dst_unused:UNUSED_PAD src0_sel:DWORD src1_sel:WORD_1
	v_mul_f16_sdwa v92, v60, v61 dst_sel:DWORD dst_unused:UNUSED_PAD src0_sel:DWORD src1_sel:WORD_1
	v_fmac_f16_e32 v98, v60, v61
	v_add_co_u32 v60, vcc_lo, 0x4000, v102
	v_fma_f16 v92, v99, v61, -v92
	v_add_co_ci_u32_e32 v61, vcc_lo, 0, v103, vcc_lo
	v_pack_b32_f16 v99, v92, v98
	global_load_dword v98, v[60:61], off offset:1616
	s_waitcnt lgkmcnt(0)
	v_lshrrev_b32_e32 v92, 16, v183
	s_waitcnt vmcnt(0)
	v_mul_f16_sdwa v101, v92, v98 dst_sel:DWORD dst_unused:UNUSED_PAD src0_sel:DWORD src1_sel:WORD_1
	v_fma_f16 v101, v183, v98, -v101
	v_mul_f16_sdwa v183, v183, v98 dst_sel:DWORD dst_unused:UNUSED_PAD src0_sel:DWORD src1_sel:WORD_1
	v_fmac_f16_e32 v183, v92, v98
	v_lshrrev_b32_e32 v92, 16, v93
	v_pack_b32_f16 v98, v101, v183
	global_load_dword v101, v[96:97], off offset:360
	s_waitcnt vmcnt(0)
	v_mul_f16_sdwa v183, v92, v101 dst_sel:DWORD dst_unused:UNUSED_PAD src0_sel:DWORD src1_sel:WORD_1
	v_fma_f16 v183, v93, v101, -v183
	v_mul_f16_sdwa v93, v93, v101 dst_sel:DWORD dst_unused:UNUSED_PAD src0_sel:DWORD src1_sel:WORD_1
	v_fmac_f16_e32 v93, v92, v101
	global_load_dword v101, v[94:95], off offset:424
	v_pack_b32_f16 v92, v183, v93
	v_lshrrev_b32_e32 v93, 16, v100
	s_waitcnt vmcnt(0)
	v_mul_f16_sdwa v183, v93, v101 dst_sel:DWORD dst_unused:UNUSED_PAD src0_sel:DWORD src1_sel:WORD_1
	v_fma_f16 v183, v100, v101, -v183
	v_mul_f16_sdwa v100, v100, v101 dst_sel:DWORD dst_unused:UNUSED_PAD src0_sel:DWORD src1_sel:WORD_1
	v_fmac_f16_e32 v100, v93, v101
	global_load_dword v101, v[60:61], off offset:1976
	v_pack_b32_f16 v93, v183, v100
	v_lshrrev_b32_e32 v100, 16, v184
	s_waitcnt vmcnt(0)
	v_mul_f16_sdwa v183, v100, v101 dst_sel:DWORD dst_unused:UNUSED_PAD src0_sel:DWORD src1_sel:WORD_1
	v_fma_f16 v183, v184, v101, -v183
	v_mul_f16_sdwa v184, v184, v101 dst_sel:DWORD dst_unused:UNUSED_PAD src0_sel:DWORD src1_sel:WORD_1
	v_fmac_f16_e32 v184, v100, v101
	ds_read2_b32 v[100:101], v147 offset0:52 offset1:142
	v_pack_b32_f16 v187, v183, v184
	global_load_dword v184, v[96:97], off offset:720
	s_waitcnt lgkmcnt(0)
	v_lshrrev_b32_e32 v183, 16, v100
	s_waitcnt vmcnt(0)
	v_mul_f16_sdwa v185, v183, v184 dst_sel:DWORD dst_unused:UNUSED_PAD src0_sel:DWORD src1_sel:WORD_1
	v_fma_f16 v185, v100, v184, -v185
	v_mul_f16_sdwa v100, v100, v184 dst_sel:DWORD dst_unused:UNUSED_PAD src0_sel:DWORD src1_sel:WORD_1
	v_fmac_f16_e32 v100, v183, v184
	ds_read2_b32 v[183:184], v145 offset0:56 offset1:146
	v_pack_b32_f16 v100, v185, v100
	ds_write2_b32 v156, v92, v100 offset0:90 offset1:180
	global_load_dword v100, v[94:95], off offset:784
	s_waitcnt lgkmcnt(1)
	v_lshrrev_b32_e32 v92, 16, v183
	s_waitcnt vmcnt(0)
	v_mul_f16_sdwa v185, v92, v100 dst_sel:DWORD dst_unused:UNUSED_PAD src0_sel:DWORD src1_sel:WORD_1
	v_fma_f16 v185, v183, v100, -v185
	v_mul_f16_sdwa v183, v183, v100 dst_sel:DWORD dst_unused:UNUSED_PAD src0_sel:DWORD src1_sel:WORD_1
	v_fmac_f16_e32 v183, v92, v100
	v_pack_b32_f16 v92, v185, v183
	ds_read2_b32 v[185:186], v149 offset0:60 offset1:150
	ds_write2_b32 v157, v93, v92 offset0:94 offset1:184
	v_add_co_u32 v92, vcc_lo, 0x4800, v102
	v_add_co_ci_u32_e32 v93, vcc_lo, 0, v103, vcc_lo
	global_load_dword v183, v[92:93], off offset:288
	s_waitcnt lgkmcnt(1)
	v_lshrrev_b32_e32 v100, 16, v185
	s_waitcnt vmcnt(0)
	v_mul_f16_sdwa v188, v100, v183 dst_sel:DWORD dst_unused:UNUSED_PAD src0_sel:DWORD src1_sel:WORD_1
	v_fma_f16 v188, v185, v183, -v188
	v_mul_f16_sdwa v185, v185, v183 dst_sel:DWORD dst_unused:UNUSED_PAD src0_sel:DWORD src1_sel:WORD_1
	v_fmac_f16_e32 v185, v100, v183
	global_load_dword v183, v[96:97], off offset:1080
	v_pack_b32_f16 v100, v188, v185
	ds_write2_b32 v153, v187, v100 offset0:98 offset1:188
	v_lshrrev_b32_e32 v100, 16, v101
	s_waitcnt vmcnt(0)
	v_mul_f16_sdwa v185, v100, v183 dst_sel:DWORD dst_unused:UNUSED_PAD src0_sel:DWORD src1_sel:WORD_1
	v_fma_f16 v185, v101, v183, -v185
	v_mul_f16_sdwa v101, v101, v183 dst_sel:DWORD dst_unused:UNUSED_PAD src0_sel:DWORD src1_sel:WORD_1
	v_fmac_f16_e32 v101, v100, v183
	v_lshrrev_b32_e32 v100, 16, v184
	v_pack_b32_f16 v183, v185, v101
	global_load_dword v101, v[94:95], off offset:1144
	s_waitcnt vmcnt(0)
	v_mul_f16_sdwa v185, v100, v101 dst_sel:DWORD dst_unused:UNUSED_PAD src0_sel:DWORD src1_sel:WORD_1
	v_fma_f16 v185, v184, v101, -v185
	v_mul_f16_sdwa v184, v184, v101 dst_sel:DWORD dst_unused:UNUSED_PAD src0_sel:DWORD src1_sel:WORD_1
	v_fmac_f16_e32 v184, v100, v101
	global_load_dword v101, v[92:93], off offset:648
	v_lshrrev_b32_e32 v100, 16, v186
	v_pack_b32_f16 v185, v185, v184
	s_waitcnt vmcnt(0)
	v_mul_f16_sdwa v184, v100, v101 dst_sel:DWORD dst_unused:UNUSED_PAD src0_sel:DWORD src1_sel:WORD_1
	v_fma_f16 v184, v186, v101, -v184
	v_mul_f16_sdwa v186, v186, v101 dst_sel:DWORD dst_unused:UNUSED_PAD src0_sel:DWORD src1_sel:WORD_1
	v_fmac_f16_e32 v186, v100, v101
	ds_read2_b32 v[100:101], v137 offset0:104 offset1:194
	v_pack_b32_f16 v187, v184, v186
	s_clause 0x1
	global_load_dword v186, v[96:97], off offset:1440
	global_load_dword v96, v[96:97], off offset:1800
	s_waitcnt lgkmcnt(0)
	v_lshrrev_b32_e32 v184, 16, v100
	s_waitcnt vmcnt(1)
	v_mul_f16_sdwa v188, v184, v186 dst_sel:DWORD dst_unused:UNUSED_PAD src0_sel:DWORD src1_sel:WORD_1
	v_fma_f16 v188, v100, v186, -v188
	v_mul_f16_sdwa v100, v100, v186 dst_sel:DWORD dst_unused:UNUSED_PAD src0_sel:DWORD src1_sel:WORD_1
	v_fmac_f16_e32 v100, v184, v186
	s_clause 0x1
	global_load_dword v186, v[94:95], off offset:1504
	global_load_dword v94, v[94:95], off offset:1864
	v_pack_b32_f16 v100, v188, v100
	ds_write2_b32 v137, v183, v100 offset0:14 offset1:104
	ds_read2_b32 v[183:184], v140 offset0:108 offset1:198
	s_waitcnt lgkmcnt(0)
	v_lshrrev_b32_e32 v100, 16, v183
	s_waitcnt vmcnt(1)
	v_mul_f16_sdwa v188, v100, v186 dst_sel:DWORD dst_unused:UNUSED_PAD src0_sel:DWORD src1_sel:WORD_1
	v_fma_f16 v188, v183, v186, -v188
	v_mul_f16_sdwa v183, v183, v186 dst_sel:DWORD dst_unused:UNUSED_PAD src0_sel:DWORD src1_sel:WORD_1
	v_fmac_f16_e32 v183, v100, v186
	v_pack_b32_f16 v100, v188, v183
	global_load_dword v183, v[92:93], off offset:1008
	ds_write2_b32 v145, v185, v100 offset0:146 offset1:236
	ds_read2_b32 v[185:186], v134 offset0:112 offset1:202
	s_waitcnt lgkmcnt(0)
	v_lshrrev_b32_e32 v100, 16, v185
	s_waitcnt vmcnt(0)
	v_mul_f16_sdwa v188, v100, v183 dst_sel:DWORD dst_unused:UNUSED_PAD src0_sel:DWORD src1_sel:WORD_1
	v_fma_f16 v188, v185, v183, -v188
	v_mul_f16_sdwa v185, v185, v183 dst_sel:DWORD dst_unused:UNUSED_PAD src0_sel:DWORD src1_sel:WORD_1
	v_fmac_f16_e32 v185, v100, v183
	v_pack_b32_f16 v100, v188, v185
	ds_write2_b32 v134, v187, v100 offset0:22 offset1:112
	v_lshrrev_b32_e32 v100, 16, v101
	v_mul_f16_sdwa v97, v100, v96 dst_sel:DWORD dst_unused:UNUSED_PAD src0_sel:DWORD src1_sel:WORD_1
	v_fma_f16 v97, v101, v96, -v97
	v_mul_f16_sdwa v101, v101, v96 dst_sel:DWORD dst_unused:UNUSED_PAD src0_sel:DWORD src1_sel:WORD_1
	v_fmac_f16_e32 v101, v100, v96
	v_lshrrev_b32_e32 v96, 16, v184
	v_pack_b32_f16 v100, v97, v101
	v_mul_f16_sdwa v95, v96, v94 dst_sel:DWORD dst_unused:UNUSED_PAD src0_sel:DWORD src1_sel:WORD_1
	v_mul_f16_sdwa v97, v184, v94 dst_sel:DWORD dst_unused:UNUSED_PAD src0_sel:DWORD src1_sel:WORD_1
	v_fma_f16 v95, v184, v94, -v95
	v_fmac_f16_e32 v97, v96, v94
	v_lshrrev_b32_e32 v94, 16, v186
	v_pack_b32_f16 v183, v95, v97
	s_clause 0x1
	global_load_dword v95, v[92:93], off offset:1368
	global_load_dword v92, v[92:93], off offset:1728
	s_waitcnt vmcnt(1)
	v_mul_f16_sdwa v96, v94, v95 dst_sel:DWORD dst_unused:UNUSED_PAD src0_sel:DWORD src1_sel:WORD_1
	v_mul_f16_sdwa v97, v186, v95 dst_sel:DWORD dst_unused:UNUSED_PAD src0_sel:DWORD src1_sel:WORD_1
	v_fma_f16 v96, v186, v95, -v96
	v_fmac_f16_e32 v97, v94, v95
	ds_read2_b32 v[94:95], v129 offset0:28 offset1:118
	v_pack_b32_f16 v185, v96, v97
	v_add_co_u32 v96, vcc_lo, 0x3000, v102
	v_add_co_ci_u32_e32 v97, vcc_lo, 0, v103, vcc_lo
	global_load_dword v184, v[96:97], off offset:672
	s_waitcnt lgkmcnt(0)
	v_lshrrev_b32_e32 v101, 16, v94
	s_waitcnt vmcnt(0)
	v_mul_f16_sdwa v186, v101, v184 dst_sel:DWORD dst_unused:UNUSED_PAD src0_sel:DWORD src1_sel:WORD_1
	v_fma_f16 v186, v94, v184, -v186
	v_mul_f16_sdwa v94, v94, v184 dst_sel:DWORD dst_unused:UNUSED_PAD src0_sel:DWORD src1_sel:WORD_1
	v_fmac_f16_e32 v94, v101, v184
	global_load_dword v184, v[60:61], off offset:176
	v_add_nc_u32_e32 v101, 0x600, v156
	v_pack_b32_f16 v94, v186, v94
	ds_write2_b32 v101, v100, v94 offset0:66 offset1:156
	ds_read2_b32 v[100:101], v127 offset0:160 offset1:250
	s_waitcnt lgkmcnt(0)
	v_lshrrev_b32_e32 v94, 16, v100
	s_waitcnt vmcnt(0)
	v_mul_f16_sdwa v186, v94, v184 dst_sel:DWORD dst_unused:UNUSED_PAD src0_sel:DWORD src1_sel:WORD_1
	v_fma_f16 v186, v100, v184, -v186
	v_mul_f16_sdwa v100, v100, v184 dst_sel:DWORD dst_unused:UNUSED_PAD src0_sel:DWORD src1_sel:WORD_1
	v_fmac_f16_e32 v100, v94, v184
	v_pack_b32_f16 v94, v186, v100
	ds_write2_b32 v127, v183, v94 offset0:70 offset1:160
	ds_read2_b32 v[183:184], v126 offset0:36 offset1:126
	s_waitcnt lgkmcnt(0)
	v_lshrrev_b32_e32 v94, 16, v183
	v_mul_f16_sdwa v100, v183, v92 dst_sel:DWORD dst_unused:UNUSED_PAD src0_sel:DWORD src1_sel:WORD_1
	v_mul_f16_sdwa v93, v94, v92 dst_sel:DWORD dst_unused:UNUSED_PAD src0_sel:DWORD src1_sel:WORD_1
	v_fmac_f16_e32 v100, v94, v92
	v_fma_f16 v93, v183, v92, -v93
	v_pack_b32_f16 v92, v93, v100
	global_load_dword v93, v[96:97], off offset:1032
	ds_write2_b32 v158, v185, v92 offset0:74 offset1:164
	v_lshrrev_b32_e32 v92, 16, v95
	s_waitcnt vmcnt(0)
	v_mul_f16_sdwa v94, v92, v93 dst_sel:DWORD dst_unused:UNUSED_PAD src0_sel:DWORD src1_sel:WORD_1
	v_fma_f16 v94, v95, v93, -v94
	v_mul_f16_sdwa v95, v95, v93 dst_sel:DWORD dst_unused:UNUSED_PAD src0_sel:DWORD src1_sel:WORD_1
	v_fmac_f16_e32 v95, v92, v93
	v_lshrrev_b32_e32 v93, 16, v101
	v_pack_b32_f16 v92, v94, v95
	global_load_dword v94, v[60:61], off offset:536
	s_waitcnt vmcnt(0)
	v_mul_f16_sdwa v95, v93, v94 dst_sel:DWORD dst_unused:UNUSED_PAD src0_sel:DWORD src1_sel:WORD_1
	v_mul_f16_sdwa v100, v101, v94 dst_sel:DWORD dst_unused:UNUSED_PAD src0_sel:DWORD src1_sel:WORD_1
	v_fma_f16 v95, v101, v94, -v95
	v_fmac_f16_e32 v100, v93, v94
	v_add_co_u32 v94, vcc_lo, 0x5000, v102
	v_pack_b32_f16 v93, v95, v100
	v_add_co_ci_u32_e32 v95, vcc_lo, 0, v103, vcc_lo
	v_lshrrev_b32_e32 v100, 16, v184
	global_load_dword v101, v[94:95], off offset:40
	s_waitcnt vmcnt(0)
	v_mul_f16_sdwa v102, v100, v101 dst_sel:DWORD dst_unused:UNUSED_PAD src0_sel:DWORD src1_sel:WORD_1
	v_mul_f16_sdwa v103, v184, v101 dst_sel:DWORD dst_unused:UNUSED_PAD src0_sel:DWORD src1_sel:WORD_1
	v_fma_f16 v102, v184, v101, -v102
	v_fmac_f16_e32 v103, v100, v101
	ds_read2_b32 v[100:101], v120 offset0:80 offset1:170
	v_pack_b32_f16 v183, v102, v103
	s_clause 0x1
	global_load_dword v103, v[96:97], off offset:1392
	global_load_dword v96, v[96:97], off offset:1752
	s_waitcnt lgkmcnt(0)
	v_lshrrev_b32_e32 v102, 16, v100
	s_waitcnt vmcnt(1)
	v_mul_f16_sdwa v184, v102, v103 dst_sel:DWORD dst_unused:UNUSED_PAD src0_sel:DWORD src1_sel:WORD_1
	v_fma_f16 v184, v100, v103, -v184
	v_mul_f16_sdwa v100, v100, v103 dst_sel:DWORD dst_unused:UNUSED_PAD src0_sel:DWORD src1_sel:WORD_1
	v_fmac_f16_e32 v100, v102, v103
	ds_read2_b32 v[102:103], v121 offset0:84 offset1:174
	v_pack_b32_f16 v100, v184, v100
	ds_write2_b32 v129, v92, v100 offset0:118 offset1:208
	s_clause 0x1
	global_load_dword v100, v[60:61], off offset:896
	global_load_dword v60, v[60:61], off offset:1256
	s_waitcnt lgkmcnt(1)
	v_lshrrev_b32_e32 v92, 16, v102
	s_waitcnt vmcnt(1)
	v_mul_f16_sdwa v184, v92, v100 dst_sel:DWORD dst_unused:UNUSED_PAD src0_sel:DWORD src1_sel:WORD_1
	v_fma_f16 v184, v102, v100, -v184
	v_mul_f16_sdwa v102, v102, v100 dst_sel:DWORD dst_unused:UNUSED_PAD src0_sel:DWORD src1_sel:WORD_1
	v_fmac_f16_e32 v102, v92, v100
	v_pack_b32_f16 v92, v184, v102
	global_load_dword v102, v[94:95], off offset:400
	ds_write2_b32 v159, v93, v92 offset0:122 offset1:212
	ds_read2_b32 v[92:93], v118 offset0:88 offset1:178
	s_waitcnt lgkmcnt(0)
	v_lshrrev_b32_e32 v100, 16, v92
	s_waitcnt vmcnt(0)
	v_mul_f16_sdwa v184, v100, v102 dst_sel:DWORD dst_unused:UNUSED_PAD src0_sel:DWORD src1_sel:WORD_1
	v_fma_f16 v184, v92, v102, -v184
	v_mul_f16_sdwa v92, v92, v102 dst_sel:DWORD dst_unused:UNUSED_PAD src0_sel:DWORD src1_sel:WORD_1
	v_fmac_f16_e32 v92, v100, v102
	v_mul_f16_sdwa v100, v101, v96 dst_sel:DWORD dst_unused:UNUSED_PAD src0_sel:DWORD src1_sel:WORD_1
	v_pack_b32_f16 v92, v184, v92
	ds_write2_b32 v126, v183, v92 offset0:126 offset1:216
	v_lshrrev_b32_e32 v92, 16, v101
	v_mul_f16_sdwa v97, v92, v96 dst_sel:DWORD dst_unused:UNUSED_PAD src0_sel:DWORD src1_sel:WORD_1
	v_fmac_f16_e32 v100, v92, v96
	v_fma_f16 v97, v101, v96, -v97
	v_mul_f16_sdwa v96, v103, v60 dst_sel:DWORD dst_unused:UNUSED_PAD src0_sel:DWORD src1_sel:WORD_1
	v_pack_b32_f16 v92, v97, v100
	ds_write2_b32 v160, v92, v99 offset0:42 offset1:132
	v_lshrrev_b32_e32 v92, 16, v103
	v_mul_f16_sdwa v61, v92, v60 dst_sel:DWORD dst_unused:UNUSED_PAD src0_sel:DWORD src1_sel:WORD_1
	v_fmac_f16_e32 v96, v92, v60
	v_fma_f16 v61, v103, v60, -v61
	v_pack_b32_f16 v60, v61, v96
	v_add_nc_u32_e32 v61, 0x1a00, v156
	ds_write2_b32 v61, v60, v98 offset0:46 offset1:136
	global_load_dword v61, v[94:95], off offset:760
	v_lshrrev_b32_e32 v60, 16, v93
	s_waitcnt vmcnt(0)
	v_mul_f16_sdwa v92, v60, v61 dst_sel:DWORD dst_unused:UNUSED_PAD src0_sel:DWORD src1_sel:WORD_1
	v_fma_f16 v92, v93, v61, -v92
	v_mul_f16_sdwa v93, v93, v61 dst_sel:DWORD dst_unused:UNUSED_PAD src0_sel:DWORD src1_sel:WORD_1
	v_fmac_f16_e32 v93, v60, v61
	v_pack_b32_f16 v60, v92, v93
	ds_write_b32 v156, v60 offset:10440
	s_waitcnt lgkmcnt(0)
	s_barrier
	buffer_gl0_inv
	ds_read2_b32 v[60:61], v156 offset1:90
	ds_read2_b32 v[92:93], v160 offset0:132 offset1:222
	ds_read2_b32 v[94:95], v153 offset0:8 offset1:98
	s_waitcnt lgkmcnt(1)
	v_pk_add_f16 v96, v61, v93
	s_waitcnt lgkmcnt(0)
	v_pk_add_f16 v201, v92, v94
	v_pk_add_f16 v101, v96, v95
	;; [unrolled: 1-line block ×3, first 2 shown]
	v_pk_add_f16 v93, v93, v95 neg_lo:[0,1] neg_hi:[0,1]
	v_pk_fma_f16 v61, v96, 0.5, v61 op_sel_hi:[1,0,1] neg_lo:[1,0,0] neg_hi:[1,0,0]
	v_pk_mul_f16 v93, 0x3aee, v93 op_sel_hi:[0,1]
	v_pk_add_f16 v95, v61, v93 op_sel:[0,1] op_sel_hi:[1,0] neg_lo:[0,1] neg_hi:[0,1]
	v_pk_add_f16 v61, v61, v93 op_sel:[0,1] op_sel_hi:[1,0]
	v_bfi_b32 v93, 0xffff, v95, v61
	v_bfi_b32 v61, 0xffff, v61, v95
	ds_read2_b32 v[95:96], v147 offset0:52 offset1:142
	ds_read2_b32 v[97:98], v145 offset0:56 offset1:146
	ds_read2_b32 v[99:100], v149 offset0:60 offset1:150
	s_waitcnt lgkmcnt(1)
	v_pk_add_f16 v102, v95, v97
	s_waitcnt lgkmcnt(0)
	v_pk_add_f16 v103, v97, v99
	v_pk_add_f16 v97, v97, v99 neg_lo:[0,1] neg_hi:[0,1]
	v_pk_add_f16 v102, v102, v99
	v_pk_fma_f16 v95, v103, 0.5, v95 op_sel_hi:[1,0,1] neg_lo:[1,0,0] neg_hi:[1,0,0]
	v_pk_mul_f16 v97, 0x3aee, v97 op_sel_hi:[0,1]
	v_pk_add_f16 v99, v95, v97 op_sel:[0,1] op_sel_hi:[1,0] neg_lo:[0,1] neg_hi:[0,1]
	v_pk_add_f16 v95, v95, v97 op_sel:[0,1] op_sel_hi:[1,0]
	v_bfi_b32 v103, 0xffff, v99, v95
	v_bfi_b32 v183, 0xffff, v95, v99
	v_pk_add_f16 v95, v96, v98
	v_pk_add_f16 v184, v95, v100
	v_pk_add_f16 v95, v98, v100
	v_pk_fma_f16 v95, v95, 0.5, v96 op_sel_hi:[1,0,1] neg_lo:[1,0,0] neg_hi:[1,0,0]
	v_pk_add_f16 v96, v98, v100 neg_lo:[0,1] neg_hi:[0,1]
	v_pk_mul_f16 v96, 0x3aee, v96 op_sel_hi:[0,1]
	v_pk_add_f16 v97, v95, v96 op_sel:[0,1] op_sel_hi:[1,0] neg_lo:[0,1] neg_hi:[0,1]
	v_pk_add_f16 v95, v95, v96 op_sel:[0,1] op_sel_hi:[1,0]
	v_bfi_b32 v185, 0xffff, v97, v95
	v_bfi_b32 v186, 0xffff, v95, v97
	ds_read2_b32 v[95:96], v137 offset0:104 offset1:194
	ds_read2_b32 v[97:98], v140 offset0:108 offset1:198
	ds_read2_b32 v[99:100], v134 offset0:112 offset1:202
	s_waitcnt lgkmcnt(1)
	v_pk_add_f16 v187, v95, v97
	s_waitcnt lgkmcnt(0)
	v_pk_add_f16 v188, v97, v99
	v_pk_add_f16 v97, v97, v99 neg_lo:[0,1] neg_hi:[0,1]
	v_pk_add_f16 v187, v187, v99
	v_pk_fma_f16 v95, v188, 0.5, v95 op_sel_hi:[1,0,1] neg_lo:[1,0,0] neg_hi:[1,0,0]
	v_pk_mul_f16 v97, 0x3aee, v97 op_sel_hi:[0,1]
	v_pk_add_f16 v99, v95, v97 op_sel:[0,1] op_sel_hi:[1,0] neg_lo:[0,1] neg_hi:[0,1]
	v_pk_add_f16 v95, v95, v97 op_sel:[0,1] op_sel_hi:[1,0]
	v_bfi_b32 v188, 0xffff, v99, v95
	v_bfi_b32 v189, 0xffff, v95, v99
	v_pk_add_f16 v95, v96, v98
	v_pk_add_f16 v190, v95, v100
	v_pk_add_f16 v95, v98, v100
	v_pk_fma_f16 v95, v95, 0.5, v96 op_sel_hi:[1,0,1] neg_lo:[1,0,0] neg_hi:[1,0,0]
	v_pk_add_f16 v96, v98, v100 neg_lo:[0,1] neg_hi:[0,1]
	;; [unrolled: 25-line block ×3, first 2 shown]
	v_pk_mul_f16 v96, 0x3aee, v96 op_sel_hi:[0,1]
	v_pk_add_f16 v97, v95, v96 op_sel:[0,1] op_sel_hi:[1,0] neg_lo:[0,1] neg_hi:[0,1]
	v_pk_add_f16 v95, v95, v96 op_sel:[0,1] op_sel_hi:[1,0]
	v_bfi_b32 v197, 0xffff, v97, v95
	v_bfi_b32 v198, 0xffff, v95, v97
	ds_read2_b32 v[95:96], v120 offset0:80 offset1:170
	ds_read2_b32 v[97:98], v121 offset0:84 offset1:174
	;; [unrolled: 1-line block ×3, first 2 shown]
	s_waitcnt lgkmcnt(0)
	s_barrier
	buffer_gl0_inv
	v_pk_add_f16 v199, v95, v97
	v_pk_add_f16 v200, v97, v99
	v_pk_add_f16 v97, v97, v99 neg_lo:[0,1] neg_hi:[0,1]
	v_pk_add_f16 v199, v199, v99
	v_pk_fma_f16 v95, v200, 0.5, v95 op_sel_hi:[1,0,1] neg_lo:[1,0,0] neg_hi:[1,0,0]
	v_pk_add_f16 v200, v60, v92
	v_pk_add_f16 v92, v92, v94 neg_lo:[0,1] neg_hi:[0,1]
	v_pk_fma_f16 v60, v201, 0.5, v60 op_sel_hi:[1,0,1] neg_lo:[1,0,0] neg_hi:[1,0,0]
	v_pk_mul_f16 v97, 0x3aee, v97 op_sel_hi:[0,1]
	v_pk_add_f16 v200, v200, v94
	v_pk_mul_f16 v92, 0x3aee, v92 op_sel_hi:[0,1]
	v_pk_add_f16 v99, v95, v97 op_sel:[0,1] op_sel_hi:[1,0] neg_lo:[0,1] neg_hi:[0,1]
	v_pk_add_f16 v95, v95, v97 op_sel:[0,1] op_sel_hi:[1,0]
	v_pk_add_f16 v94, v60, v92 op_sel:[0,1] op_sel_hi:[1,0] neg_lo:[0,1] neg_hi:[0,1]
	v_pk_add_f16 v60, v60, v92 op_sel:[0,1] op_sel_hi:[1,0]
	v_bfi_b32 v97, 0xffff, v99, v95
	v_bfi_b32 v95, 0xffff, v95, v99
	v_pk_add_f16 v99, v96, v98
	v_bfi_b32 v92, 0xffff, v94, v60
	v_bfi_b32 v60, 0xffff, v60, v94
	v_pk_add_f16 v99, v99, v100
	ds_write2_b32 v104, v200, v92 offset1:1
	ds_write_b32 v104, v60 offset:8
	ds_write2_b32 v105, v101, v93 offset1:1
	ds_write_b32 v105, v61 offset:8
	ds_write2_b32 v106, v102, v103 offset1:1
	ds_write_b32 v106, v183 offset:8
	ds_write2_b32 v108, v184, v185 offset1:1
	ds_write_b32 v108, v186 offset:8
	ds_write2_b32 v109, v187, v188 offset1:1
	ds_write_b32 v109, v189 offset:8
	ds_write2_b32 v110, v190, v191 offset1:1
	ds_write_b32 v110, v192 offset:8
	ds_write2_b32 v111, v193, v194 offset1:1
	ds_write_b32 v111, v195 offset:8
	ds_write2_b32 v167, v196, v197 offset1:1
	ds_write_b32 v167, v198 offset:8
	ds_write2_b32 v168, v199, v97 offset1:1
	ds_write_b32 v168, v95 offset:8
	v_pk_add_f16 v60, v98, v100
	v_pk_add_f16 v61, v98, v100 neg_lo:[0,1] neg_hi:[0,1]
	v_pk_fma_f16 v60, v60, 0.5, v96 op_sel_hi:[1,0,1] neg_lo:[1,0,0] neg_hi:[1,0,0]
	v_pk_mul_f16 v61, 0x3aee, v61 op_sel_hi:[0,1]
	v_pk_add_f16 v92, v60, v61 op_sel:[0,1] op_sel_hi:[1,0] neg_lo:[0,1] neg_hi:[0,1]
	v_pk_add_f16 v60, v60, v61 op_sel:[0,1] op_sel_hi:[1,0]
	v_bfi_b32 v61, 0xffff, v92, v60
	v_bfi_b32 v60, 0xffff, v60, v92
	ds_write2_b32 v107, v99, v61 offset1:1
	ds_write_b32 v107, v60 offset:8
	s_waitcnt lgkmcnt(0)
	s_barrier
	buffer_gl0_inv
	ds_read2_b32 v[60:61], v147 offset0:52 offset1:142
	ds_read2_b32 v[200:201], v129 offset0:28 offset1:118
	;; [unrolled: 1-line block ×14, first 2 shown]
	ds_read2_b32 v[92:93], v156 offset1:90
	s_waitcnt lgkmcnt(0)
	s_barrier
	buffer_gl0_inv
	v_lshrrev_b32_e32 v168, 16, v61
	v_lshrrev_b32_e32 v183, 16, v200
	;; [unrolled: 1-line block ×5, first 2 shown]
	v_mul_f16_sdwa v167, v8, v168 dst_sel:DWORD dst_unused:UNUSED_PAD src0_sel:WORD_1 src1_sel:DWORD
	v_lshrrev_b32_e32 v206, 16, v212
	v_mul_f16_sdwa v184, v10, v185 dst_sel:DWORD dst_unused:UNUSED_PAD src0_sel:WORD_1 src1_sel:DWORD
	v_lshrrev_b32_e32 v208, 16, v99
	v_lshrrev_b32_e32 v216, 16, v214
	v_fmac_f16_e32 v167, v8, v61
	v_mul_f16_sdwa v61, v8, v61 dst_sel:DWORD dst_unused:UNUSED_PAD src0_sel:WORD_1 src1_sel:DWORD
	v_fmac_f16_e32 v184, v10, v107
	v_lshrrev_b32_e32 v217, 16, v95
	v_mul_f16_sdwa v209, v9, v183 dst_sel:DWORD dst_unused:UNUSED_PAD src0_sel:WORD_1 src1_sel:DWORD
	v_lshrrev_b32_e32 v218, 16, v110
	v_fma_f16 v61, v8, v168, -v61
	v_mul_f16_sdwa v8, v9, v200 dst_sel:DWORD dst_unused:UNUSED_PAD src0_sel:WORD_1 src1_sel:DWORD
	v_mul_f16_sdwa v210, v11, v186 dst_sel:DWORD dst_unused:UNUSED_PAD src0_sel:WORD_1 src1_sel:DWORD
	;; [unrolled: 1-line block ×3, first 2 shown]
	v_lshrrev_b32_e32 v219, 16, v201
	v_fmac_f16_e32 v209, v9, v200
	v_fma_f16 v188, v9, v183, -v8
	v_mul_f16_sdwa v8, v10, v107 dst_sel:DWORD dst_unused:UNUSED_PAD src0_sel:WORD_1 src1_sel:DWORD
	v_fmac_f16_e32 v211, v13, v212
	v_mul_f16_sdwa v9, v0, v110 dst_sel:DWORD dst_unused:UNUSED_PAD src0_sel:WORD_1 src1_sel:DWORD
	v_lshrrev_b32_e32 v220, 16, v108
	v_lshrrev_b32_e32 v221, 16, v205
	v_fma_f16 v107, v10, v185, -v8
	v_mul_f16_sdwa v8, v11, v204 dst_sel:DWORD dst_unused:UNUSED_PAD src0_sel:WORD_1 src1_sel:DWORD
	v_mul_f16_sdwa v185, v12, v187 dst_sel:DWORD dst_unused:UNUSED_PAD src0_sel:WORD_1 src1_sel:DWORD
	v_lshrrev_b32_e32 v222, 16, v102
	v_lshrrev_b32_e32 v223, 16, v213
	v_fmac_f16_e32 v210, v11, v204
	v_fma_f16 v194, v11, v186, -v8
	v_mul_f16_sdwa v8, v12, v105 dst_sel:DWORD dst_unused:UNUSED_PAD src0_sel:WORD_1 src1_sel:DWORD
	v_mul_f16_sdwa v186, v14, v208 dst_sel:DWORD dst_unused:UNUSED_PAD src0_sel:WORD_1 src1_sel:DWORD
	;; [unrolled: 1-line block ×3, first 2 shown]
	v_lshrrev_b32_e32 v224, 16, v100
	v_fmac_f16_e32 v185, v12, v105
	v_fma_f16 v168, v12, v187, -v8
	v_mul_f16_sdwa v8, v13, v212 dst_sel:DWORD dst_unused:UNUSED_PAD src0_sel:WORD_1 src1_sel:DWORD
	v_mul_f16_sdwa v187, v162, v217 dst_sel:DWORD dst_unused:UNUSED_PAD src0_sel:WORD_1 src1_sel:DWORD
	;; [unrolled: 1-line block ×3, first 2 shown]
	v_fmac_f16_e32 v186, v14, v99
	v_fmac_f16_e32 v11, v4, v102
	v_fma_f16 v207, v13, v206, -v8
	v_mul_f16_sdwa v8, v14, v99 dst_sel:DWORD dst_unused:UNUSED_PAD src0_sel:WORD_1 src1_sel:DWORD
	v_fmac_f16_e32 v187, v162, v95
	v_fmac_f16_e32 v212, v15, v214
	v_mul_f16_sdwa v99, v3, v221 dst_sel:DWORD dst_unused:UNUSED_PAD src0_sel:WORD_1 src1_sel:DWORD
	v_mul_f16_sdwa v105, v5, v223 dst_sel:DWORD dst_unused:UNUSED_PAD src0_sel:WORD_1 src1_sel:DWORD
	v_fma_f16 v183, v14, v208, -v8
	v_mul_f16_sdwa v8, v15, v214 dst_sel:DWORD dst_unused:UNUSED_PAD src0_sel:WORD_1 src1_sel:DWORD
	v_lshrrev_b32_e32 v225, 16, v215
	v_fmac_f16_e32 v99, v3, v205
	v_fmac_f16_e32 v105, v5, v213
	v_mul_f16_sdwa v12, v6, v224 dst_sel:DWORD dst_unused:UNUSED_PAD src0_sel:WORD_1 src1_sel:DWORD
	v_fma_f16 v208, v15, v216, -v8
	v_mul_f16_sdwa v8, v162, v95 dst_sel:DWORD dst_unused:UNUSED_PAD src0_sel:WORD_1 src1_sel:DWORD
	v_mul_f16_sdwa v15, v1, v219 dst_sel:DWORD dst_unused:UNUSED_PAD src0_sel:WORD_1 src1_sel:DWORD
	v_lshrrev_b32_e32 v226, 16, v96
	v_lshrrev_b32_e32 v197, 16, v111
	v_mul_f16_sdwa v10, v2, v220 dst_sel:DWORD dst_unused:UNUSED_PAD src0_sel:WORD_1 src1_sel:DWORD
	v_fma_f16 v162, v162, v217, -v8
	v_mul_f16_sdwa v8, v0, v218 dst_sel:DWORD dst_unused:UNUSED_PAD src0_sel:WORD_1 src1_sel:DWORD
	v_fmac_f16_e32 v15, v1, v201
	v_fmac_f16_e32 v12, v6, v100
	v_mul_f16_sdwa v200, v7, v225 dst_sel:DWORD dst_unused:UNUSED_PAD src0_sel:WORD_1 src1_sel:DWORD
	v_lshrrev_b32_e32 v196, 16, v106
	v_fmac_f16_e32 v8, v0, v110
	v_fma_f16 v0, v0, v218, -v9
	v_mul_f16_sdwa v9, v1, v201 dst_sel:DWORD dst_unused:UNUSED_PAD src0_sel:WORD_1 src1_sel:DWORD
	v_fmac_f16_e32 v10, v2, v108
	v_fmac_f16_e32 v200, v7, v215
	v_lshrrev_b32_e32 v198, 16, v109
	v_lshrrev_b32_e32 v199, 16, v104
	v_fma_f16 v13, v1, v219, -v9
	v_mul_f16_sdwa v1, v2, v108 dst_sel:DWORD dst_unused:UNUSED_PAD src0_sel:WORD_1 src1_sel:DWORD
	v_lshrrev_b32_e32 v203, 16, v103
	v_lshrrev_b32_e32 v202, 16, v98
	;; [unrolled: 1-line block ×4, first 2 shown]
	v_fma_f16 v9, v2, v220, -v1
	v_mul_f16_sdwa v1, v3, v205 dst_sel:DWORD dst_unused:UNUSED_PAD src0_sel:WORD_1 src1_sel:DWORD
	v_mul_f16_sdwa v2, v20, v111 dst_sel:DWORD dst_unused:UNUSED_PAD src0_sel:WORD_1 src1_sel:DWORD
	;; [unrolled: 1-line block ×4, first 2 shown]
	v_lshrrev_b32_e32 v190, 16, v97
	v_fma_f16 v95, v3, v221, -v1
	v_mul_f16_sdwa v1, v4, v102 dst_sel:DWORD dst_unused:UNUSED_PAD src0_sel:WORD_1 src1_sel:DWORD
	v_fma_f16 v2, v20, v197, -v2
	v_fmac_f16_e32 v201, v16, v103
	v_fmac_f16_e32 v204, v17, v98
	v_mul_f16_sdwa v205, v19, v191 dst_sel:DWORD dst_unused:UNUSED_PAD src0_sel:WORD_1 src1_sel:DWORD
	v_fma_f16 v3, v4, v222, -v1
	v_mul_f16_sdwa v1, v5, v213 dst_sel:DWORD dst_unused:UNUSED_PAD src0_sel:WORD_1 src1_sel:DWORD
	v_mul_f16_sdwa v4, v21, v106 dst_sel:DWORD dst_unused:UNUSED_PAD src0_sel:WORD_1 src1_sel:DWORD
	;; [unrolled: 1-line block ×3, first 2 shown]
	v_fmac_f16_e32 v205, v19, v94
	v_lshrrev_b32_e32 v195, 16, v92
	v_fma_f16 v102, v5, v223, -v1
	v_mul_f16_sdwa v1, v6, v100 dst_sel:DWORD dst_unused:UNUSED_PAD src0_sel:WORD_1 src1_sel:DWORD
	v_fmac_f16_e32 v14, v161, v96
	v_sub_f16_e32 v108, v168, v183
	v_sub_f16_e32 v110, v187, v186
	v_lshrrev_b32_e32 v192, 16, v93
	v_fma_f16 v5, v6, v224, -v1
	v_mul_f16_sdwa v1, v7, v215 dst_sel:DWORD dst_unused:UNUSED_PAD src0_sel:WORD_1 src1_sel:DWORD
	v_mul_f16_sdwa v6, v22, v198 dst_sel:DWORD dst_unused:UNUSED_PAD src0_sel:WORD_1 src1_sel:DWORD
	v_lshrrev_b32_e32 v189, 16, v60
	v_fma_f16 v100, v7, v225, -v1
	v_mul_f16_sdwa v1, v161, v96 dst_sel:DWORD dst_unused:UNUSED_PAD src0_sel:WORD_1 src1_sel:DWORD
	v_fmac_f16_e32 v6, v22, v109
	v_sub_f16_e32 v96, v194, v207
	v_fma_f16 v7, v161, v226, -v1
	v_mul_f16_sdwa v1, v20, v197 dst_sel:DWORD dst_unused:UNUSED_PAD src0_sel:WORD_1 src1_sel:DWORD
	v_mul_f16_sdwa v197, v21, v196 dst_sel:DWORD dst_unused:UNUSED_PAD src0_sel:WORD_1 src1_sel:DWORD
	v_fma_f16 v196, v21, v196, -v4
	v_mul_f16_sdwa v4, v22, v109 dst_sel:DWORD dst_unused:UNUSED_PAD src0_sel:WORD_1 src1_sel:DWORD
	v_sub_f16_e32 v109, v184, v185
	v_fmac_f16_e32 v1, v20, v111
	v_mul_f16_sdwa v20, v23, v104 dst_sel:DWORD dst_unused:UNUSED_PAD src0_sel:WORD_1 src1_sel:DWORD
	v_fmac_f16_e32 v197, v21, v106
	v_fma_f16 v4, v22, v198, -v4
	v_mul_f16_sdwa v198, v23, v199 dst_sel:DWORD dst_unused:UNUSED_PAD src0_sel:WORD_1 src1_sel:DWORD
	v_sub_f16_e32 v106, v207, v208
	v_fma_f16 v199, v23, v199, -v20
	v_mul_f16_sdwa v20, v16, v103 dst_sel:DWORD dst_unused:UNUSED_PAD src0_sel:WORD_1 src1_sel:DWORD
	v_sub_f16_e32 v103, v188, v194
	v_fmac_f16_e32 v198, v23, v104
	v_sub_f16_e32 v23, v209, v210
	v_sub_f16_e32 v104, v208, v207
	v_fma_f16 v16, v16, v203, -v20
	v_mul_f16_sdwa v20, v17, v98 dst_sel:DWORD dst_unused:UNUSED_PAD src0_sel:WORD_1 src1_sel:DWORD
	v_sub_f16_e32 v98, v211, v212
	v_add_f16_e32 v109, v109, v110
	v_add_f16_e32 v103, v103, v104
	v_sub_f16_e32 v104, v194, v188
	v_fma_f16 v203, v17, v202, -v20
	v_add_f16_e32 v20, v92, v209
	v_mul_f16_sdwa v202, v18, v193 dst_sel:DWORD dst_unused:UNUSED_PAD src0_sel:WORD_1 src1_sel:DWORD
	v_mul_f16_sdwa v17, v18, v101 dst_sel:DWORD dst_unused:UNUSED_PAD src0_sel:WORD_1 src1_sel:DWORD
	v_add_f16_e32 v104, v104, v106
	v_sub_f16_e32 v110, v185, v184
	v_add_f16_e32 v20, v20, v210
	v_fmac_f16_e32 v202, v18, v101
	v_fma_f16 v17, v18, v193, -v17
	v_mul_f16_sdwa v18, v19, v94 dst_sel:DWORD dst_unused:UNUSED_PAD src0_sel:WORD_1 src1_sel:DWORD
	v_sub_f16_e32 v94, v188, v208
	v_add_f16_e32 v20, v20, v211
	v_sub_f16_e32 v101, v210, v211
	v_sub_f16_e32 v111, v186, v187
	v_fma_f16 v206, v19, v191, -v18
	v_mul_f16_sdwa v19, v163, v190 dst_sel:DWORD dst_unused:UNUSED_PAD src0_sel:WORD_1 src1_sel:DWORD
	v_add_f16_e32 v21, v20, v212
	v_add_f16_e32 v20, v210, v211
	v_mul_f16_sdwa v18, v163, v97 dst_sel:DWORD dst_unused:UNUSED_PAD src0_sel:WORD_1 src1_sel:DWORD
	v_add_f16_e32 v110, v110, v111
	v_fmac_f16_e32 v19, v163, v97
	v_sub_f16_e32 v97, v212, v211
	v_fma_f16 v20, -0.5, v20, v92
	v_fma_f16 v18, v163, v190, -v18
	v_sub_f16_e32 v161, v185, v186
	v_sub_f16_e32 v163, v107, v168
	v_add_f16_e32 v23, v23, v97
	v_fmamk_f16 v22, v94, 0xbb9c, v20
	v_fmac_f16_e32 v20, 0x3b9c, v94
	v_sub_f16_e32 v97, v210, v209
	v_fmac_f16_e32 v22, 0xb8b4, v96
	v_fmac_f16_e32 v20, 0x38b4, v96
	v_add_f16_e32 v97, v97, v98
	v_fmac_f16_e32 v22, 0x34f2, v23
	v_fmac_f16_e32 v20, 0x34f2, v23
	v_add_f16_e32 v23, v209, v212
	v_fma_f16 v23, -0.5, v23, v92
	v_fmamk_f16 v92, v96, 0x3b9c, v23
	v_fmac_f16_e32 v23, 0xbb9c, v96
	v_add_f16_e32 v96, v194, v207
	v_fmac_f16_e32 v92, 0xb8b4, v94
	v_fmac_f16_e32 v23, 0x38b4, v94
	v_fma_f16 v96, -0.5, v96, v195
	v_add_f16_e32 v94, v195, v188
	v_fmac_f16_e32 v92, 0x34f2, v97
	v_fmac_f16_e32 v23, 0x34f2, v97
	v_sub_f16_e32 v97, v209, v212
	v_add_f16_e32 v94, v94, v194
	v_fmamk_f16 v98, v97, 0x3b9c, v96
	v_fmac_f16_e32 v96, 0xbb9c, v97
	v_add_f16_e32 v94, v94, v207
	v_fmac_f16_e32 v98, 0x38b4, v101
	v_fmac_f16_e32 v96, 0xb8b4, v101
	v_add_f16_e32 v94, v94, v208
	v_fmac_f16_e32 v98, 0x34f2, v103
	v_fmac_f16_e32 v96, 0x34f2, v103
	v_add_f16_e32 v103, v188, v208
	v_fmac_f16_e32 v195, -0.5, v103
	v_fmamk_f16 v103, v101, 0xbb9c, v195
	v_fmac_f16_e32 v195, 0x3b9c, v101
	v_add_f16_e32 v101, v185, v186
	v_fmac_f16_e32 v103, 0x38b4, v97
	v_fmac_f16_e32 v195, 0xb8b4, v97
	v_fma_f16 v101, -0.5, v101, v167
	v_add_f16_e32 v97, v167, v184
	v_fmac_f16_e32 v103, 0x34f2, v104
	v_fmac_f16_e32 v195, 0x34f2, v104
	v_sub_f16_e32 v104, v107, v162
	v_add_f16_e32 v97, v97, v185
	v_fmamk_f16 v106, v104, 0xbb9c, v101
	v_fmac_f16_e32 v101, 0x3b9c, v104
	v_add_f16_e32 v97, v97, v186
	v_fmac_f16_e32 v106, 0xb8b4, v108
	v_fmac_f16_e32 v101, 0x38b4, v108
	v_add_f16_e32 v97, v97, v187
	v_fmac_f16_e32 v106, 0x34f2, v109
	v_fmac_f16_e32 v101, 0x34f2, v109
	v_add_f16_e32 v109, v184, v187
	v_add_f16_e32 v190, v21, v97
	v_fmac_f16_e32 v167, -0.5, v109
	v_fmamk_f16 v109, v108, 0x3b9c, v167
	v_fmac_f16_e32 v167, 0xbb9c, v108
	v_add_f16_e32 v108, v168, v183
	v_fmac_f16_e32 v109, 0xb8b4, v104
	v_fmac_f16_e32 v167, 0x38b4, v104
	v_fma_f16 v108, -0.5, v108, v61
	v_add_f16_e32 v104, v61, v107
	v_fmac_f16_e32 v109, 0x34f2, v110
	v_fmac_f16_e32 v167, 0x34f2, v110
	v_sub_f16_e32 v110, v184, v187
	v_sub_f16_e32 v184, v162, v183
	v_add_f16_e32 v104, v104, v168
	v_fmamk_f16 v111, v110, 0x3b9c, v108
	v_fmac_f16_e32 v108, 0xbb9c, v110
	v_add_f16_e32 v163, v163, v184
	v_add_f16_e32 v104, v104, v183
	v_fmac_f16_e32 v111, 0x38b4, v161
	v_fmac_f16_e32 v108, 0xb8b4, v161
	v_add_f16_e32 v104, v104, v162
	v_fmac_f16_e32 v111, 0x34f2, v163
	v_fmac_f16_e32 v108, 0x34f2, v163
	v_add_f16_e32 v163, v107, v162
	v_sub_f16_e32 v107, v168, v107
	v_sub_f16_e32 v162, v183, v162
	;; [unrolled: 1-line block ×3, first 2 shown]
	v_add_f16_e32 v21, v99, v105
	v_fmac_f16_e32 v61, -0.5, v163
	v_mul_f16_e32 v207, 0xb8b4, v108
	v_add_f16_e32 v107, v107, v162
	v_add_f16_e32 v194, v94, v104
	v_fma_f16 v21, -0.5, v21, v93
	v_fmamk_f16 v163, v161, 0xbb9c, v61
	v_fmac_f16_e32 v61, 0x3b9c, v161
	v_mul_f16_e32 v208, 0xba79, v108
	v_fmac_f16_e32 v207, 0xba79, v101
	v_sub_f16_e32 v97, v14, v12
	v_fmac_f16_e32 v163, 0x38b4, v110
	v_fmac_f16_e32 v61, 0xb8b4, v110
	v_mul_f16_e32 v110, 0xb8b4, v111
	v_mul_f16_e32 v111, 0x3a79, v111
	v_fmac_f16_e32 v208, 0x38b4, v101
	v_fmac_f16_e32 v163, 0x34f2, v107
	;; [unrolled: 1-line block ×5, first 2 shown]
	v_add_f16_e32 v107, v20, v207
	v_mul_f16_e32 v162, 0xbb9c, v163
	v_mul_f16_e32 v185, 0xbb9c, v61
	v_mul_f16_e32 v61, 0xb4f2, v61
	v_add_f16_e32 v191, v22, v110
	v_sub_f16_e32 v161, v22, v110
	v_fmac_f16_e32 v162, 0x34f2, v109
	v_fmac_f16_e32 v185, 0xb4f2, v167
	;; [unrolled: 1-line block ×3, first 2 shown]
	v_sub_f16_e32 v22, v13, v100
	v_mul_f16_e32 v106, 0x34f2, v163
	v_add_f16_e32 v186, v92, v162
	v_add_f16_e32 v184, v23, v185
	;; [unrolled: 1-line block ×3, first 2 shown]
	v_sub_f16_e32 v162, v92, v162
	v_sub_f16_e32 v108, v23, v185
	;; [unrolled: 1-line block ×4, first 2 shown]
	v_fmamk_f16 v23, v22, 0xbb9c, v21
	v_sub_f16_e32 v61, v95, v102
	v_sub_f16_e32 v92, v15, v99
	;; [unrolled: 1-line block ×3, first 2 shown]
	v_fmac_f16_e32 v21, 0x3b9c, v22
	v_fmac_f16_e32 v106, 0x3b9c, v109
	;; [unrolled: 1-line block ×3, first 2 shown]
	v_sub_f16_e32 v109, v20, v207
	v_add_f16_e32 v92, v92, v94
	v_fmac_f16_e32 v21, 0x38b4, v61
	v_add_f16_e32 v20, v93, v15
	v_add_f16_e32 v193, v98, v111
	;; [unrolled: 1-line block ×3, first 2 shown]
	v_fmac_f16_e32 v23, 0x34f2, v92
	v_fmac_f16_e32 v21, 0x34f2, v92
	v_add_f16_e32 v92, v15, v200
	v_sub_f16_e32 v163, v98, v111
	v_sub_f16_e32 v111, v96, v208
	v_add_f16_e32 v20, v20, v99
	v_sub_f16_e32 v96, v105, v200
	v_fmac_f16_e32 v93, -0.5, v92
	v_sub_f16_e32 v92, v99, v15
	v_sub_f16_e32 v15, v15, v200
	v_add_f16_e32 v20, v20, v105
	v_sub_f16_e32 v98, v12, v14
	v_fmamk_f16 v94, v61, 0x3b9c, v93
	v_fmac_f16_e32 v93, 0xbb9c, v61
	v_add_f16_e32 v61, v95, v102
	v_add_f16_e32 v92, v92, v96
	;; [unrolled: 1-line block ×3, first 2 shown]
	v_fmac_f16_e32 v94, 0xb8b4, v22
	v_fmac_f16_e32 v93, 0x38b4, v22
	v_fma_f16 v195, -0.5, v61, v192
	v_sub_f16_e32 v61, v99, v105
	v_sub_f16_e32 v96, v100, v102
	v_fmac_f16_e32 v94, 0x34f2, v92
	v_fmac_f16_e32 v93, 0x34f2, v92
	v_fmamk_f16 v200, v15, 0x3b9c, v195
	v_sub_f16_e32 v92, v13, v95
	v_fmac_f16_e32 v195, 0xbb9c, v15
	v_add_f16_e32 v22, v192, v13
	v_add_f16_e32 v188, v103, v106
	v_fmac_f16_e32 v200, 0x38b4, v61
	v_add_f16_e32 v92, v92, v96
	v_fmac_f16_e32 v195, 0xb8b4, v61
	v_add_f16_e32 v22, v22, v95
	v_sub_f16_e32 v96, v10, v11
	v_sub_f16_e32 v167, v103, v106
	v_fmac_f16_e32 v200, 0x34f2, v92
	v_fmac_f16_e32 v195, 0x34f2, v92
	v_add_f16_e32 v92, v13, v100
	v_sub_f16_e32 v13, v95, v13
	v_sub_f16_e32 v95, v3, v5
	v_add_f16_e32 v96, v96, v97
	v_sub_f16_e32 v97, v11, v10
	v_fmac_f16_e32 v192, -0.5, v92
	v_sub_f16_e32 v92, v102, v100
	v_add_f16_e32 v22, v22, v102
	v_pack_b32_f16 v184, v184, v187
	v_add_f16_e32 v97, v97, v98
	v_fmamk_f16 v207, v61, 0xbb9c, v192
	v_fmac_f16_e32 v192, 0x3b9c, v61
	v_sub_f16_e32 v61, v9, v7
	v_add_f16_e32 v13, v13, v92
	v_add_f16_e32 v22, v22, v100
	v_fmac_f16_e32 v207, 0x38b4, v15
	v_fmac_f16_e32 v192, 0xb8b4, v15
	v_add_f16_e32 v15, v11, v12
	v_fmac_f16_e32 v207, 0x34f2, v13
	v_fmac_f16_e32 v192, 0x34f2, v13
	v_fma_f16 v15, -0.5, v15, v8
	v_add_f16_e32 v13, v8, v10
	v_fmamk_f16 v92, v61, 0xbb9c, v15
	v_fmac_f16_e32 v15, 0x3b9c, v61
	v_add_f16_e32 v13, v13, v11
	v_sub_f16_e32 v11, v11, v12
	v_fmac_f16_e32 v92, 0xb8b4, v95
	v_fmac_f16_e32 v15, 0x38b4, v95
	v_add_f16_e32 v13, v13, v12
	v_sub_f16_e32 v12, v9, v3
	v_fmac_f16_e32 v92, 0x34f2, v96
	v_fmac_f16_e32 v15, 0x34f2, v96
	v_add_f16_e32 v96, v10, v14
	v_sub_f16_e32 v10, v10, v14
	v_add_f16_e32 v13, v13, v14
	v_fmac_f16_e32 v8, -0.5, v96
	v_add_f16_e32 v105, v20, v13
	v_fmamk_f16 v96, v95, 0x3b9c, v8
	v_fmac_f16_e32 v8, 0xbb9c, v95
	v_fmac_f16_e32 v96, 0xb8b4, v61
	;; [unrolled: 1-line block ×3, first 2 shown]
	v_add_f16_e32 v61, v0, v9
	v_fmac_f16_e32 v96, 0x34f2, v97
	v_fmac_f16_e32 v8, 0x34f2, v97
	v_add_f16_e32 v61, v61, v3
	v_add_f16_e32 v61, v61, v5
	;; [unrolled: 1-line block ×4, first 2 shown]
	v_sub_f16_e32 v3, v3, v9
	v_add_f16_e32 v106, v22, v95
	v_fma_f16 v97, -0.5, v61, v0
	v_sub_f16_e32 v61, v7, v5
	v_sub_f16_e32 v5, v5, v7
	;; [unrolled: 1-line block ×3, first 2 shown]
	v_fmamk_f16 v14, v10, 0x3b9c, v97
	v_fmac_f16_e32 v97, 0xbb9c, v10
	v_add_f16_e32 v12, v12, v61
	v_add_f16_e32 v3, v3, v5
	v_fmac_f16_e32 v14, 0x38b4, v11
	v_fmac_f16_e32 v97, 0xb8b4, v11
	;; [unrolled: 1-line block ×4, first 2 shown]
	v_add_f16_e32 v12, v9, v7
	v_mul_f16_e32 v9, 0xb8b4, v97
	v_fmac_f16_e32 v0, -0.5, v12
	v_fmac_f16_e32 v9, 0xba79, v15
	v_fmamk_f16 v12, v11, 0xbb9c, v0
	v_fmac_f16_e32 v0, 0x3b9c, v11
	v_add_f16_e32 v61, v21, v9
	v_fmac_f16_e32 v12, 0x38b4, v10
	v_fmac_f16_e32 v0, 0xb8b4, v10
	v_mul_f16_e32 v10, 0x3a79, v14
	v_sub_f16_e32 v21, v21, v9
	v_sub_f16_e32 v9, v197, v198
	v_fmac_f16_e32 v12, 0x34f2, v3
	v_fmac_f16_e32 v0, 0x34f2, v3
	v_mul_f16_e32 v3, 0xb8b4, v14
	v_fmac_f16_e32 v10, 0x38b4, v92
	v_mul_f16_e32 v5, 0xbb9c, v12
	v_mul_f16_e32 v7, 0xbb9c, v0
	v_fmac_f16_e32 v3, 0x3a79, v92
	v_mul_f16_e32 v0, 0xb4f2, v0
	v_mul_f16_e32 v11, 0x34f2, v12
	v_fmac_f16_e32 v5, 0x34f2, v96
	v_fmac_f16_e32 v7, 0xb4f2, v8
	v_add_f16_e32 v103, v23, v3
	v_fmac_f16_e32 v0, 0x3b9c, v8
	v_mul_f16_e32 v8, 0xba79, v97
	v_sub_f16_e32 v92, v23, v3
	v_add_f16_e32 v3, v198, v204
	v_add_f16_e32 v100, v94, v5
	v_sub_f16_e32 v94, v94, v5
	v_fmac_f16_e32 v8, 0x38b4, v15
	v_sub_f16_e32 v5, v196, v206
	v_fma_f16 v3, -0.5, v3, v60
	v_add_f16_e32 v99, v93, v7
	v_add_f16_e32 v104, v200, v10
	v_fmac_f16_e32 v11, 0x3b9c, v96
	v_add_f16_e32 v96, v195, v8
	v_sub_f16_e32 v97, v20, v13
	v_sub_f16_e32 v20, v93, v7
	v_sub_f16_e32 v93, v200, v10
	v_sub_f16_e32 v23, v195, v8
	v_fmamk_f16 v7, v5, 0xbb9c, v3
	v_sub_f16_e32 v8, v199, v203
	v_sub_f16_e32 v10, v205, v204
	v_fmac_f16_e32 v3, 0x3b9c, v5
	v_add_f16_e32 v101, v192, v0
	v_sub_f16_e32 v22, v192, v0
	v_fmac_f16_e32 v7, 0xb8b4, v8
	v_add_f16_e32 v9, v9, v10
	v_fmac_f16_e32 v3, 0x38b4, v8
	v_add_f16_e32 v0, v60, v197
	v_add_f16_e32 v102, v207, v11
	v_sub_f16_e32 v95, v207, v11
	v_fmac_f16_e32 v7, 0x34f2, v9
	v_fmac_f16_e32 v3, 0x34f2, v9
	v_add_f16_e32 v9, v197, v205
	v_sub_f16_e32 v10, v204, v205
	v_sub_f16_e32 v12, v206, v203
	;; [unrolled: 1-line block ×4, first 2 shown]
	v_fmac_f16_e32 v60, -0.5, v9
	v_sub_f16_e32 v9, v198, v197
	v_add_f16_e32 v0, v0, v198
	v_pack_b32_f16 v103, v103, v104
	v_add_f16_e32 v13, v13, v15
	v_fmamk_f16 v11, v8, 0x3b9c, v60
	v_fmac_f16_e32 v60, 0xbb9c, v8
	v_add_f16_e32 v9, v9, v10
	v_sub_f16_e32 v10, v196, v199
	v_add_f16_e32 v0, v0, v204
	v_fmac_f16_e32 v11, 0xb8b4, v5
	v_fmac_f16_e32 v60, 0x38b4, v5
	v_add_f16_e32 v5, v189, v196
	v_add_f16_e32 v10, v10, v12
	v_sub_f16_e32 v12, v203, v206
	v_fmac_f16_e32 v11, 0x34f2, v9
	v_fmac_f16_e32 v60, 0x34f2, v9
	v_add_f16_e32 v5, v5, v199
	v_sub_f16_e32 v9, v198, v204
	v_add_f16_e32 v0, v0, v205
	v_pack_b32_f16 v99, v99, v101
	v_pack_b32_f16 v20, v20, v22
	v_add_f16_e32 v5, v5, v203
	v_pack_b32_f16 v21, v21, v23
	v_add_f16_e32 v8, v5, v206
	v_add_f16_e32 v5, v199, v203
	v_fma_f16 v192, -0.5, v5, v189
	v_sub_f16_e32 v5, v197, v205
	v_fmamk_f16 v195, v5, 0x3b9c, v192
	v_fmac_f16_e32 v192, 0xbb9c, v5
	v_fmac_f16_e32 v195, 0x38b4, v9
	;; [unrolled: 1-line block ×5, first 2 shown]
	v_add_f16_e32 v10, v196, v206
	v_fmac_f16_e32 v189, -0.5, v10
	v_sub_f16_e32 v10, v199, v196
	v_sub_f16_e32 v196, v202, v19
	v_fmamk_f16 v197, v9, 0xbb9c, v189
	v_fmac_f16_e32 v189, 0x3b9c, v9
	v_add_f16_e32 v10, v10, v12
	v_add_f16_e32 v9, v201, v202
	v_sub_f16_e32 v12, v16, v17
	v_fmac_f16_e32 v197, 0x38b4, v5
	v_fmac_f16_e32 v189, 0xb8b4, v5
	v_add_f16_e32 v5, v1, v6
	v_fma_f16 v9, -0.5, v9, v1
	v_fmac_f16_e32 v197, 0x34f2, v10
	v_fmac_f16_e32 v189, 0x34f2, v10
	v_sub_f16_e32 v10, v4, v18
	v_add_f16_e32 v5, v5, v201
	v_fmamk_f16 v14, v10, 0xbb9c, v9
	v_fmac_f16_e32 v9, 0x3b9c, v10
	v_add_f16_e32 v5, v5, v202
	v_fmac_f16_e32 v14, 0xb8b4, v12
	v_fmac_f16_e32 v9, 0x38b4, v12
	v_add_f16_e32 v5, v5, v19
	v_fmac_f16_e32 v14, 0x34f2, v13
	v_fmac_f16_e32 v9, 0x34f2, v13
	v_add_f16_e32 v13, v6, v19
	v_fmac_f16_e32 v1, -0.5, v13
	v_sub_f16_e32 v13, v201, v6
	v_sub_f16_e32 v6, v6, v19
	;; [unrolled: 1-line block ×3, first 2 shown]
	v_fmamk_f16 v15, v12, 0x3b9c, v1
	v_fmac_f16_e32 v1, 0xbb9c, v12
	v_add_f16_e32 v13, v13, v196
	v_sub_f16_e32 v12, v201, v202
	v_fmac_f16_e32 v15, 0xb8b4, v10
	v_fmac_f16_e32 v1, 0x38b4, v10
	v_add_f16_e32 v10, v2, v4
	v_fmac_f16_e32 v15, 0x34f2, v13
	v_fmac_f16_e32 v1, 0x34f2, v13
	v_add_f16_e32 v10, v10, v16
	v_sub_f16_e32 v13, v4, v16
	v_add_f16_e32 v10, v10, v17
	v_add_f16_e32 v13, v13, v19
	;; [unrolled: 1-line block ×5, first 2 shown]
	v_fma_f16 v10, -0.5, v10, v2
	v_fmamk_f16 v198, v6, 0x3b9c, v10
	v_fmac_f16_e32 v10, 0xbb9c, v6
	v_fmac_f16_e32 v198, 0x38b4, v12
	;; [unrolled: 1-line block ×5, first 2 shown]
	v_add_f16_e32 v13, v4, v18
	v_sub_f16_e32 v4, v16, v4
	v_mul_f16_e32 v202, 0xb8b4, v10
	v_fmac_f16_e32 v2, -0.5, v13
	v_sub_f16_e32 v13, v17, v18
	v_add_f16_e32 v18, v0, v5
	v_mul_f16_e32 v203, 0xba79, v10
	v_sub_f16_e32 v10, v0, v5
	v_fmamk_f16 v199, v12, 0xbb9c, v2
	v_fmac_f16_e32 v2, 0x3b9c, v12
	v_add_f16_e32 v4, v4, v13
	v_fmac_f16_e32 v202, 0xba79, v9
	v_fmac_f16_e32 v203, 0x38b4, v9
	;; [unrolled: 1-line block ×4, first 2 shown]
	v_mul_f16_e32 v6, 0xb8b4, v198
	v_mul_f16_e32 v198, 0x3a79, v198
	v_add_f16_e32 v9, v192, v203
	v_fmac_f16_e32 v199, 0x34f2, v4
	v_fmac_f16_e32 v2, 0x34f2, v4
	;; [unrolled: 1-line block ×4, first 2 shown]
	v_add_f16_e32 v4, v3, v202
	v_mul_f16_e32 v200, 0xbb9c, v199
	v_mul_f16_e32 v201, 0xbb9c, v2
	;; [unrolled: 1-line block ×4, first 2 shown]
	v_add_f16_e32 v16, v7, v6
	v_fmac_f16_e32 v200, 0x34f2, v15
	v_fmac_f16_e32 v201, 0xb4f2, v1
	;; [unrolled: 1-line block ×4, first 2 shown]
	v_sub_f16_e32 v5, v7, v6
	v_add_f16_e32 v13, v11, v200
	v_add_f16_e32 v12, v60, v201
	;; [unrolled: 1-line block ×3, first 2 shown]
	v_sub_f16_e32 v0, v60, v201
	v_sub_f16_e32 v2, v189, v2
	v_pack_b32_f16 v60, v190, v194
	v_pack_b32_f16 v189, v191, v193
	v_sub_f16_e32 v6, v11, v200
	v_sub_f16_e32 v11, v8, v196
	v_add_f16_e32 v17, v195, v198
	v_add_f16_e32 v15, v197, v199
	ds_write2_b32 v170, v60, v189 offset1:3
	v_pack_b32_f16 v60, v186, v188
	v_sub_f16_e32 v1, v3, v202
	v_sub_f16_e32 v7, v195, v198
	;; [unrolled: 1-line block ×4, first 2 shown]
	ds_write2_b32 v170, v60, v184 offset0:6 offset1:9
	v_pack_b32_f16 v60, v107, v168
	v_pack_b32_f16 v107, v183, v185
	;; [unrolled: 1-line block ×6, first 2 shown]
	ds_write2_b32 v170, v60, v107 offset0:12 offset1:15
	v_pack_b32_f16 v60, v161, v163
	v_pack_b32_f16 v107, v162, v167
	;; [unrolled: 1-line block ×6, first 2 shown]
	ds_write2_b32 v170, v60, v107 offset0:18 offset1:21
	v_pack_b32_f16 v60, v108, v110
	v_pack_b32_f16 v107, v109, v111
	ds_write2_b32 v170, v60, v107 offset0:24 offset1:27
	v_pack_b32_f16 v60, v105, v106
	ds_write2_b32 v169, v20, v21 offset0:24 offset1:27
	ds_write2_b32 v169, v60, v103 offset1:3
	v_pack_b32_f16 v60, v100, v102
	ds_write2_b32 v169, v60, v99 offset0:6 offset1:9
	v_pack_b32_f16 v60, v61, v96
	v_pack_b32_f16 v61, v97, v98
	ds_write2_b32 v169, v60, v61 offset0:12 offset1:15
	v_pack_b32_f16 v60, v92, v93
	v_pack_b32_f16 v61, v94, v95
	ds_write2_b32 v169, v60, v61 offset0:18 offset1:21
	ds_write2_b32 v165, v4, v9 offset0:12 offset1:15
	v_pack_b32_f16 v4, v5, v7
	v_pack_b32_f16 v5, v6, v8
	ds_write2_b32 v165, v18, v16 offset1:3
	ds_write2_b32 v165, v13, v12 offset0:6 offset1:9
	ds_write2_b32 v165, v0, v1 offset0:24 offset1:27
	;; [unrolled: 1-line block ×3, first 2 shown]
	s_waitcnt lgkmcnt(0)
	s_barrier
	buffer_gl0_inv
	ds_read2_b32 v[0:1], v147 offset0:52 offset1:142
	ds_read2_b32 v[109:110], v129 offset0:28 offset1:118
	;; [unrolled: 1-line block ×14, first 2 shown]
	ds_read2_b32 v[2:3], v156 offset1:90
	s_waitcnt lgkmcnt(0)
	s_barrier
	buffer_gl0_inv
	v_lshrrev_b32_e32 v61, 16, v1
	v_lshrrev_b32_e32 v92, 16, v109
	;; [unrolled: 1-line block ×5, first 2 shown]
	v_mul_f16_sdwa v60, v32, v61 dst_sel:DWORD dst_unused:UNUSED_PAD src0_sel:WORD_1 src1_sel:DWORD
	v_lshrrev_b32_e32 v111, 16, v169
	v_lshrrev_b32_e32 v165, 16, v9
	v_mul_f16_sdwa v161, v33, v92 dst_sel:DWORD dst_unused:UNUSED_PAD src0_sel:WORD_1 src1_sel:DWORD
	v_mul_f16_sdwa v93, v34, v94 dst_sel:DWORD dst_unused:UNUSED_PAD src0_sel:WORD_1 src1_sel:DWORD
	v_fmac_f16_e32 v60, v32, v1
	v_mul_f16_sdwa v1, v32, v1 dst_sel:DWORD dst_unused:UNUSED_PAD src0_sel:WORD_1 src1_sel:DWORD
	v_mul_f16_sdwa v162, v35, v95 dst_sel:DWORD dst_unused:UNUSED_PAD src0_sel:WORD_1 src1_sel:DWORD
	;; [unrolled: 1-line block ×3, first 2 shown]
	v_lshrrev_b32_e32 v185, 16, v183
	v_lshrrev_b32_e32 v188, 16, v110
	v_fma_f16 v32, v32, v61, -v1
	v_mul_f16_sdwa v1, v33, v109 dst_sel:DWORD dst_unused:UNUSED_PAD src0_sel:WORD_1 src1_sel:DWORD
	v_fmac_f16_e32 v163, v37, v169
	v_lshrrev_b32_e32 v186, 16, v5
	v_lshrrev_b32_e32 v187, 16, v20
	;; [unrolled: 1-line block ×3, first 2 shown]
	v_fma_f16 v96, v33, v92, -v1
	v_mul_f16_sdwa v1, v34, v17 dst_sel:DWORD dst_unused:UNUSED_PAD src0_sel:WORD_1 src1_sel:DWORD
	v_lshrrev_b32_e32 v190, 16, v168
	v_fmac_f16_e32 v161, v33, v109
	v_lshrrev_b32_e32 v191, 16, v12
	v_fmac_f16_e32 v162, v35, v167
	v_fma_f16 v61, v34, v94, -v1
	v_mul_f16_sdwa v1, v35, v167 dst_sel:DWORD dst_unused:UNUSED_PAD src0_sel:WORD_1 src1_sel:DWORD
	v_mul_f16_sdwa v94, v36, v102 dst_sel:DWORD dst_unused:UNUSED_PAD src0_sel:WORD_1 src1_sel:DWORD
	v_lshrrev_b32_e32 v192, 16, v170
	v_lshrrev_b32_e32 v193, 16, v10
	v_lshrrev_b32_e32 v195, 16, v6
	v_fma_f16 v101, v35, v95, -v1
	v_mul_f16_sdwa v1, v36, v15 dst_sel:DWORD dst_unused:UNUSED_PAD src0_sel:WORD_1 src1_sel:DWORD
	v_mul_f16_sdwa v95, v38, v165 dst_sel:DWORD dst_unused:UNUSED_PAD src0_sel:WORD_1 src1_sel:DWORD
	v_fmac_f16_e32 v94, v36, v15
	v_mul_f16_sdwa v35, v27, v190 dst_sel:DWORD dst_unused:UNUSED_PAD src0_sel:WORD_1 src1_sel:DWORD
	v_fmac_f16_e32 v93, v34, v17
	v_fma_f16 v92, v36, v102, -v1
	v_mul_f16_sdwa v1, v37, v169 dst_sel:DWORD dst_unused:UNUSED_PAD src0_sel:WORD_1 src1_sel:DWORD
	v_fmac_f16_e32 v95, v38, v9
	v_fmac_f16_e32 v35, v27, v168
	v_mul_f16_sdwa v17, v26, v189 dst_sel:DWORD dst_unused:UNUSED_PAD src0_sel:WORD_1 src1_sel:DWORD
	v_lshrrev_b32_e32 v194, 16, v184
	v_fma_f16 v102, v37, v111, -v1
	v_mul_f16_sdwa v1, v38, v9 dst_sel:DWORD dst_unused:UNUSED_PAD src0_sel:WORD_1 src1_sel:DWORD
	v_mul_f16_sdwa v9, v25, v110 dst_sel:DWORD dst_unused:UNUSED_PAD src0_sel:WORD_1 src1_sel:DWORD
	v_fmac_f16_e32 v17, v26, v18
	v_mul_f16_sdwa v36, v29, v192 dst_sel:DWORD dst_unused:UNUSED_PAD src0_sel:WORD_1 src1_sel:DWORD
	v_lshrrev_b32_e32 v104, 16, v21
	v_fma_f16 v37, v38, v165, -v1
	v_mul_f16_sdwa v1, v39, v183 dst_sel:DWORD dst_unused:UNUSED_PAD src0_sel:WORD_1 src1_sel:DWORD
	v_mul_f16_sdwa v165, v39, v185 dst_sel:DWORD dst_unused:UNUSED_PAD src0_sel:WORD_1 src1_sel:DWORD
	v_fma_f16 v33, v25, v188, -v9
	v_mul_f16_sdwa v9, v26, v18 dst_sel:DWORD dst_unused:UNUSED_PAD src0_sel:WORD_1 src1_sel:DWORD
	v_lshrrev_b32_e32 v103, 16, v16
	v_fma_f16 v111, v39, v185, -v1
	v_mul_f16_sdwa v1, v166, v5 dst_sel:DWORD dst_unused:UNUSED_PAD src0_sel:WORD_1 src1_sel:DWORD
	v_fmac_f16_e32 v165, v39, v183
	v_mul_f16_sdwa v39, v166, v186 dst_sel:DWORD dst_unused:UNUSED_PAD src0_sel:WORD_1 src1_sel:DWORD
	v_fma_f16 v15, v26, v189, -v9
	v_mul_f16_sdwa v9, v27, v168 dst_sel:DWORD dst_unused:UNUSED_PAD src0_sel:WORD_1 src1_sel:DWORD
	v_fma_f16 v38, v166, v186, -v1
	v_mul_f16_sdwa v1, v24, v187 dst_sel:DWORD dst_unused:UNUSED_PAD src0_sel:WORD_1 src1_sel:DWORD
	v_fmac_f16_e32 v39, v166, v5
	v_mul_f16_sdwa v5, v24, v20 dst_sel:DWORD dst_unused:UNUSED_PAD src0_sel:WORD_1 src1_sel:DWORD
	v_fma_f16 v27, v27, v190, -v9
	v_mul_f16_sdwa v9, v28, v12 dst_sel:DWORD dst_unused:UNUSED_PAD src0_sel:WORD_1 src1_sel:DWORD
	v_fmac_f16_e32 v1, v24, v20
	v_mul_f16_sdwa v20, v28, v191 dst_sel:DWORD dst_unused:UNUSED_PAD src0_sel:WORD_1 src1_sel:DWORD
	v_mul_f16_sdwa v26, v164, v195 dst_sel:DWORD dst_unused:UNUSED_PAD src0_sel:WORD_1 src1_sel:DWORD
	;; [unrolled: 1-line block ×3, first 2 shown]
	v_fmac_f16_e32 v36, v29, v170
	v_lshrrev_b32_e32 v108, 16, v19
	v_fmac_f16_e32 v20, v28, v12
	v_fma_f16 v12, v28, v191, -v9
	v_mul_f16_sdwa v9, v29, v170 dst_sel:DWORD dst_unused:UNUSED_PAD src0_sel:WORD_1 src1_sel:DWORD
	v_fmac_f16_e32 v26, v164, v6
	v_mul_f16_sdwa v6, v164, v6 dst_sel:DWORD dst_unused:UNUSED_PAD src0_sel:WORD_1 src1_sel:DWORD
	v_fma_f16 v5, v24, v187, -v5
	v_fmac_f16_e32 v34, v25, v110
	v_fma_f16 v28, v29, v192, -v9
	v_mul_f16_sdwa v9, v30, v10 dst_sel:DWORD dst_unused:UNUSED_PAD src0_sel:WORD_1 src1_sel:DWORD
	v_mul_f16_sdwa v25, v30, v193 dst_sel:DWORD dst_unused:UNUSED_PAD src0_sel:WORD_1 src1_sel:DWORD
	v_fma_f16 v24, v164, v195, -v6
	v_mul_f16_sdwa v6, v44, v104 dst_sel:DWORD dst_unused:UNUSED_PAD src0_sel:WORD_1 src1_sel:DWORD
	v_lshrrev_b32_e32 v105, 16, v14
	v_fma_f16 v18, v30, v193, -v9
	v_mul_f16_sdwa v9, v31, v184 dst_sel:DWORD dst_unused:UNUSED_PAD src0_sel:WORD_1 src1_sel:DWORD
	v_fmac_f16_e32 v25, v30, v10
	v_mul_f16_sdwa v10, v45, v16 dst_sel:DWORD dst_unused:UNUSED_PAD src0_sel:WORD_1 src1_sel:DWORD
	v_lshrrev_b32_e32 v107, 16, v13
	v_lshrrev_b32_e32 v106, 16, v8
	v_fma_f16 v29, v31, v194, -v9
	v_mul_f16_sdwa v9, v44, v21 dst_sel:DWORD dst_unused:UNUSED_PAD src0_sel:WORD_1 src1_sel:DWORD
	v_lshrrev_b32_e32 v100, 16, v11
	v_lshrrev_b32_e32 v99, 16, v4
	;; [unrolled: 1-line block ×3, first 2 shown]
	v_fmac_f16_e32 v6, v44, v21
	v_fma_f16 v9, v44, v104, -v9
	v_mul_f16_sdwa v104, v45, v103 dst_sel:DWORD dst_unused:UNUSED_PAD src0_sel:WORD_1 src1_sel:DWORD
	v_fma_f16 v103, v45, v103, -v10
	v_mul_f16_sdwa v10, v46, v19 dst_sel:DWORD dst_unused:UNUSED_PAD src0_sel:WORD_1 src1_sel:DWORD
	v_mul_f16_sdwa v109, v43, v99 dst_sel:DWORD dst_unused:UNUSED_PAD src0_sel:WORD_1 src1_sel:DWORD
	;; [unrolled: 1-line block ×3, first 2 shown]
	v_fmac_f16_e32 v104, v45, v16
	v_mul_f16_sdwa v16, v46, v108 dst_sel:DWORD dst_unused:UNUSED_PAD src0_sel:WORD_1 src1_sel:DWORD
	v_fma_f16 v10, v46, v108, -v10
	v_mul_f16_sdwa v108, v41, v106 dst_sel:DWORD dst_unused:UNUSED_PAD src0_sel:WORD_1 src1_sel:DWORD
	v_fmac_f16_e32 v109, v43, v4
	v_mul_f16_sdwa v4, v43, v4 dst_sel:DWORD dst_unused:UNUSED_PAD src0_sel:WORD_1 src1_sel:DWORD
	v_fmac_f16_e32 v16, v46, v19
	v_mul_f16_sdwa v19, v47, v105 dst_sel:DWORD dst_unused:UNUSED_PAD src0_sel:WORD_1 src1_sel:DWORD
	v_fmac_f16_e32 v108, v41, v8
	v_mul_f16_sdwa v8, v41, v8 dst_sel:DWORD dst_unused:UNUSED_PAD src0_sel:WORD_1 src1_sel:DWORD
	v_fma_f16 v110, v43, v99, -v4
	v_mul_f16_sdwa v4, v171, v7 dst_sel:DWORD dst_unused:UNUSED_PAD src0_sel:WORD_1 src1_sel:DWORD
	v_fmac_f16_e32 v19, v47, v14
	v_mul_f16_sdwa v14, v47, v14 dst_sel:DWORD dst_unused:UNUSED_PAD src0_sel:WORD_1 src1_sel:DWORD
	v_fmac_f16_e32 v30, v31, v184
	v_sub_f16_e32 v43, v165, v163
	v_lshrrev_b32_e32 v23, 16, v2
	v_sub_f16_e32 v44, v163, v165
	v_fma_f16 v14, v47, v105, -v14
	v_mul_f16_sdwa v105, v40, v107 dst_sel:DWORD dst_unused:UNUSED_PAD src0_sel:WORD_1 src1_sel:DWORD
	v_sub_f16_e32 v45, v96, v101
	v_sub_f16_e32 v46, v111, v102
	v_fma_f16 v4, v171, v97, -v4
	v_sub_f16_e32 v99, v39, v95
	v_fmac_f16_e32 v105, v40, v13
	v_mul_f16_sdwa v13, v40, v13 dst_sel:DWORD dst_unused:UNUSED_PAD src0_sel:WORD_1 src1_sel:DWORD
	v_add_f16_e32 v45, v45, v46
	v_sub_f16_e32 v46, v102, v111
	v_lshrrev_b32_e32 v22, 16, v3
	v_lshrrev_b32_e32 v98, 16, v0
	v_fma_f16 v13, v40, v107, -v13
	v_fma_f16 v107, v41, v106, -v8
	v_mul_f16_sdwa v106, v42, v100 dst_sel:DWORD dst_unused:UNUSED_PAD src0_sel:WORD_1 src1_sel:DWORD
	v_mul_f16_sdwa v8, v42, v11 dst_sel:DWORD dst_unused:UNUSED_PAD src0_sel:WORD_1 src1_sel:DWORD
	v_sub_f16_e32 v40, v96, v111
	v_sub_f16_e32 v41, v161, v162
	v_fmac_f16_e32 v106, v42, v11
	v_mul_f16_sdwa v11, v171, v97 dst_sel:DWORD dst_unused:UNUSED_PAD src0_sel:WORD_1 src1_sel:DWORD
	v_fma_f16 v8, v42, v100, -v8
	v_sub_f16_e32 v42, v101, v102
	v_add_f16_e32 v41, v41, v43
	v_sub_f16_e32 v43, v162, v161
	v_fmac_f16_e32 v11, v171, v7
	v_add_f16_e32 v7, v2, v161
	v_sub_f16_e32 v97, v93, v94
	v_sub_f16_e32 v100, v95, v39
	v_add_f16_e32 v43, v43, v44
	v_add_f16_e32 v7, v7, v162
	;; [unrolled: 1-line block ×3, first 2 shown]
	v_sub_f16_e32 v99, v94, v93
	v_add_f16_e32 v7, v7, v163
	v_add_f16_e32 v99, v99, v100
	;; [unrolled: 1-line block ×4, first 2 shown]
	v_fma_f16 v7, -0.5, v7, v2
	v_fmamk_f16 v31, v40, 0xbb9c, v7
	v_fmac_f16_e32 v7, 0x3b9c, v40
	v_fmac_f16_e32 v31, 0xb8b4, v42
	;; [unrolled: 1-line block ×5, first 2 shown]
	v_add_f16_e32 v41, v161, v165
	v_fma_f16 v2, -0.5, v41, v2
	v_fmamk_f16 v41, v42, 0x3b9c, v2
	v_fmac_f16_e32 v2, 0xbb9c, v42
	v_sub_f16_e32 v42, v162, v163
	v_fmac_f16_e32 v41, 0xb8b4, v40
	v_fmac_f16_e32 v2, 0x38b4, v40
	v_add_f16_e32 v40, v23, v96
	v_fmac_f16_e32 v41, 0x34f2, v43
	v_fmac_f16_e32 v2, 0x34f2, v43
	v_add_f16_e32 v40, v40, v101
	v_add_f16_e32 v40, v40, v102
	;; [unrolled: 1-line block ×4, first 2 shown]
	v_fma_f16 v44, -0.5, v40, v23
	v_sub_f16_e32 v40, v161, v165
	v_fmamk_f16 v47, v40, 0x3b9c, v44
	v_fmac_f16_e32 v44, 0xbb9c, v40
	v_fmac_f16_e32 v47, 0x38b4, v42
	;; [unrolled: 1-line block ×5, first 2 shown]
	v_add_f16_e32 v45, v96, v111
	v_fmac_f16_e32 v23, -0.5, v45
	v_sub_f16_e32 v45, v101, v96
	v_sub_f16_e32 v96, v92, v37
	v_fmamk_f16 v161, v42, 0xbb9c, v23
	v_fmac_f16_e32 v23, 0x3b9c, v42
	v_add_f16_e32 v45, v45, v46
	v_fmac_f16_e32 v161, 0x38b4, v40
	v_fmac_f16_e32 v23, 0xb8b4, v40
	v_add_f16_e32 v40, v60, v93
	v_fmac_f16_e32 v161, 0x34f2, v45
	v_fmac_f16_e32 v23, 0x34f2, v45
	v_add_f16_e32 v40, v40, v94
	v_add_f16_e32 v40, v40, v95
	;; [unrolled: 1-line block ×4, first 2 shown]
	v_fma_f16 v45, -0.5, v40, v60
	v_sub_f16_e32 v40, v61, v38
	v_fmamk_f16 v46, v40, 0xbb9c, v45
	v_fmac_f16_e32 v45, 0x3b9c, v40
	v_fmac_f16_e32 v46, 0xb8b4, v96
	;; [unrolled: 1-line block ×5, first 2 shown]
	v_add_f16_e32 v97, v93, v39
	v_sub_f16_e32 v39, v93, v39
	v_sub_f16_e32 v93, v61, v92
	v_fmac_f16_e32 v60, -0.5, v97
	v_fmamk_f16 v97, v96, 0x3b9c, v60
	v_fmac_f16_e32 v60, 0xbb9c, v96
	v_fmac_f16_e32 v97, 0xb8b4, v40
	;; [unrolled: 1-line block ×3, first 2 shown]
	v_add_f16_e32 v40, v32, v61
	v_fmac_f16_e32 v97, 0x34f2, v99
	v_fmac_f16_e32 v60, 0x34f2, v99
	v_add_f16_e32 v40, v40, v92
	v_add_f16_e32 v99, v21, v42
	;; [unrolled: 1-line block ×6, first 2 shown]
	v_fma_f16 v162, -0.5, v40, v32
	v_sub_f16_e32 v40, v94, v95
	v_sub_f16_e32 v94, v38, v37
	;; [unrolled: 1-line block ×3, first 2 shown]
	v_fmamk_f16 v96, v39, 0x3b9c, v162
	v_fmac_f16_e32 v162, 0xbb9c, v39
	v_add_f16_e32 v93, v93, v94
	v_fmac_f16_e32 v96, 0x38b4, v40
	v_fmac_f16_e32 v162, 0xb8b4, v40
	;; [unrolled: 1-line block ×4, first 2 shown]
	v_add_f16_e32 v93, v61, v38
	v_sub_f16_e32 v61, v92, v61
	v_sub_f16_e32 v92, v21, v42
	;; [unrolled: 1-line block ×3, first 2 shown]
	v_mul_f16_e32 v163, 0xb8b4, v162
	v_fmac_f16_e32 v32, -0.5, v93
	v_add_f16_e32 v37, v61, v37
	v_mul_f16_e32 v162, 0xba79, v162
	v_mul_f16_e32 v164, 0x3a79, v96
	v_fmac_f16_e32 v163, 0xba79, v45
	v_fmamk_f16 v94, v40, 0xbb9c, v32
	v_fmac_f16_e32 v32, 0x3b9c, v40
	v_fmac_f16_e32 v162, 0x38b4, v45
	v_fmac_f16_e32 v164, 0x38b4, v46
	v_add_f16_e32 v40, v7, v163
	v_fmac_f16_e32 v94, 0x38b4, v39
	v_fmac_f16_e32 v32, 0xb8b4, v39
	v_sub_f16_e32 v42, v7, v163
	v_add_f16_e32 v7, v35, v36
	v_add_f16_e32 v61, v44, v162
	v_fmac_f16_e32 v94, 0x34f2, v37
	v_fmac_f16_e32 v32, 0x34f2, v37
	v_mul_f16_e32 v37, 0xb8b4, v96
	v_fma_f16 v7, -0.5, v7, v3
	v_sub_f16_e32 v44, v44, v162
	v_mul_f16_e32 v38, 0xbb9c, v94
	v_mul_f16_e32 v39, 0xbb9c, v32
	;; [unrolled: 1-line block ×3, first 2 shown]
	v_fmac_f16_e32 v37, 0x3a79, v46
	v_mul_f16_e32 v165, 0x34f2, v94
	v_sub_f16_e32 v94, v43, v111
	v_fmac_f16_e32 v38, 0x34f2, v97
	v_fmac_f16_e32 v32, 0x3b9c, v60
	v_add_f16_e32 v100, v31, v37
	v_sub_f16_e32 v45, v31, v37
	v_sub_f16_e32 v31, v27, v28
	;; [unrolled: 1-line block ×3, first 2 shown]
	v_add_f16_e32 v96, v23, v32
	v_sub_f16_e32 v43, v23, v32
	v_fmamk_f16 v23, v21, 0xbb9c, v7
	v_sub_f16_e32 v32, v34, v35
	v_fmac_f16_e32 v7, 0x3b9c, v21
	v_fmac_f16_e32 v39, 0xb4f2, v60
	v_add_f16_e32 v95, v41, v38
	v_fmac_f16_e32 v23, 0xb8b4, v31
	v_add_f16_e32 v32, v32, v37
	;; [unrolled: 2-line block ×3, first 2 shown]
	v_sub_f16_e32 v46, v41, v38
	v_sub_f16_e32 v41, v2, v39
	v_fmac_f16_e32 v23, 0x34f2, v32
	v_fmac_f16_e32 v7, 0x34f2, v32
	v_add_f16_e32 v32, v34, v30
	v_add_f16_e32 v2, v3, v34
	v_fmac_f16_e32 v165, 0x3b9c, v97
	v_sub_f16_e32 v37, v36, v30
	v_add_f16_e32 v101, v47, v164
	v_fmac_f16_e32 v3, -0.5, v32
	v_add_f16_e32 v2, v2, v35
	v_sub_f16_e32 v32, v35, v34
	v_add_f16_e32 v97, v161, v165
	v_sub_f16_e32 v60, v161, v165
	v_fmamk_f16 v111, v31, 0x3b9c, v3
	v_fmac_f16_e32 v3, 0xbb9c, v31
	v_add_f16_e32 v2, v2, v36
	v_add_f16_e32 v32, v32, v37
	v_sub_f16_e32 v47, v47, v164
	v_fmac_f16_e32 v111, 0xb8b4, v21
	v_fmac_f16_e32 v3, 0x38b4, v21
	v_add_f16_e32 v21, v22, v33
	v_add_f16_e32 v2, v2, v30
	v_pack_b32_f16 v40, v40, v61
	v_fmac_f16_e32 v111, 0x34f2, v32
	v_fmac_f16_e32 v3, 0x34f2, v32
	v_add_f16_e32 v21, v21, v27
	v_sub_f16_e32 v32, v33, v27
	v_pack_b32_f16 v61, v92, v94
	v_pack_b32_f16 v95, v95, v97
	;; [unrolled: 1-line block ×3, first 2 shown]
	v_add_f16_e32 v21, v21, v28
	ds_write2_b32 v174, v40, v61 offset0:120 offset1:150
	v_pack_b32_f16 v40, v45, v47
	v_pack_b32_f16 v45, v46, v60
	v_add_f16_e32 v31, v21, v29
	v_add_f16_e32 v21, v27, v28
	v_sub_f16_e32 v27, v27, v33
	ds_write2_b32 v174, v95, v93 offset0:60 offset1:90
	ds_write2_b32 v174, v40, v45 offset0:180 offset1:210
	v_pack_b32_f16 v40, v41, v43
	v_fma_f16 v161, -0.5, v21, v22
	v_sub_f16_e32 v21, v34, v30
	v_sub_f16_e32 v30, v35, v36
	;; [unrolled: 1-line block ×4, first 2 shown]
	v_pack_b32_f16 v41, v42, v44
	v_fmamk_f16 v162, v21, 0x3b9c, v161
	v_fmac_f16_e32 v161, 0xbb9c, v21
	v_add_f16_e32 v32, v32, v34
	v_add_f16_e32 v27, v27, v28
	v_sub_f16_e32 v28, v15, v24
	v_fmac_f16_e32 v162, 0x38b4, v30
	v_fmac_f16_e32 v161, 0xb8b4, v30
	ds_write2_b32 v177, v40, v41 offset0:112 offset1:142
	v_fmac_f16_e32 v162, 0x34f2, v32
	v_fmac_f16_e32 v161, 0x34f2, v32
	v_add_f16_e32 v32, v33, v29
	v_sub_f16_e32 v33, v26, v25
	v_fmac_f16_e32 v22, -0.5, v32
	v_sub_f16_e32 v32, v17, v20
	v_fmamk_f16 v163, v30, 0xbb9c, v22
	v_fmac_f16_e32 v22, 0x3b9c, v30
	v_sub_f16_e32 v30, v12, v18
	v_add_f16_e32 v32, v32, v33
	v_sub_f16_e32 v33, v25, v26
	v_fmac_f16_e32 v163, 0x38b4, v21
	v_fmac_f16_e32 v22, 0xb8b4, v21
	v_add_f16_e32 v21, v1, v17
	v_fmac_f16_e32 v163, 0x34f2, v27
	v_fmac_f16_e32 v22, 0x34f2, v27
	v_add_f16_e32 v27, v20, v25
	v_add_f16_e32 v21, v21, v20
	v_fma_f16 v27, -0.5, v27, v1
	v_add_f16_e32 v21, v21, v25
	v_fmamk_f16 v29, v28, 0xbb9c, v27
	v_fmac_f16_e32 v27, 0x3b9c, v28
	v_add_f16_e32 v21, v21, v26
	v_fmac_f16_e32 v29, 0xb8b4, v30
	v_fmac_f16_e32 v27, 0x38b4, v30
	v_add_f16_e32 v38, v2, v21
	v_fmac_f16_e32 v29, 0x34f2, v32
	v_fmac_f16_e32 v27, 0x34f2, v32
	v_add_f16_e32 v32, v17, v26
	v_fmac_f16_e32 v1, -0.5, v32
	v_sub_f16_e32 v32, v20, v17
	v_sub_f16_e32 v17, v17, v26
	;; [unrolled: 1-line block ×4, first 2 shown]
	v_fmamk_f16 v34, v30, 0x3b9c, v1
	v_fmac_f16_e32 v1, 0xbb9c, v30
	v_add_f16_e32 v30, v12, v18
	v_add_f16_e32 v32, v32, v33
	v_fmac_f16_e32 v34, 0xb8b4, v28
	v_fmac_f16_e32 v1, 0x38b4, v28
	v_fma_f16 v30, -0.5, v30, v5
	v_add_f16_e32 v28, v5, v15
	v_fmac_f16_e32 v34, 0x34f2, v32
	v_fmac_f16_e32 v1, 0x34f2, v32
	v_fmamk_f16 v26, v17, 0x3b9c, v30
	v_sub_f16_e32 v32, v24, v18
	v_fmac_f16_e32 v30, 0xbb9c, v17
	v_add_f16_e32 v28, v28, v12
	v_sub_f16_e32 v12, v12, v15
	v_fmac_f16_e32 v26, 0x38b4, v20
	v_add_f16_e32 v25, v25, v32
	v_fmac_f16_e32 v30, 0xb8b4, v20
	v_add_f16_e32 v28, v28, v18
	v_fmac_f16_e32 v26, 0x34f2, v25
	v_fmac_f16_e32 v30, 0x34f2, v25
	v_add_f16_e32 v25, v15, v24
	v_sub_f16_e32 v15, v18, v24
	v_add_f16_e32 v28, v28, v24
	v_mul_f16_e32 v164, 0x3a79, v26
	v_mul_f16_e32 v18, 0xb8b4, v30
	v_fmac_f16_e32 v5, -0.5, v25
	v_add_f16_e32 v12, v12, v15
	v_add_f16_e32 v39, v31, v28
	v_fmac_f16_e32 v164, 0x38b4, v29
	v_fmac_f16_e32 v18, 0xba79, v27
	v_fmamk_f16 v25, v20, 0xbb9c, v5
	v_fmac_f16_e32 v5, 0x3b9c, v20
	v_sub_f16_e32 v31, v31, v28
	v_add_f16_e32 v37, v162, v164
	v_add_f16_e32 v24, v7, v18
	v_fmac_f16_e32 v25, 0x38b4, v17
	v_fmac_f16_e32 v5, 0xb8b4, v17
	v_pack_b32_f16 v38, v38, v39
	v_fmac_f16_e32 v25, 0x34f2, v12
	v_fmac_f16_e32 v5, 0x34f2, v12
	v_mul_f16_e32 v12, 0xb8b4, v26
	v_mul_f16_e32 v15, 0xbb9c, v25
	;; [unrolled: 1-line block ×4, first 2 shown]
	v_fmac_f16_e32 v12, 0x3a79, v29
	v_mul_f16_e32 v165, 0x34f2, v25
	v_fmac_f16_e32 v15, 0x34f2, v34
	v_fmac_f16_e32 v17, 0xb4f2, v1
	v_fmac_f16_e32 v5, 0x3b9c, v1
	v_mul_f16_e32 v1, 0xba79, v30
	v_sub_f16_e32 v30, v2, v21
	v_add_f16_e32 v2, v19, v108
	v_add_f16_e32 v32, v3, v17
	v_sub_f16_e32 v20, v3, v17
	v_sub_f16_e32 v3, v103, v110
	v_add_f16_e32 v36, v23, v12
	v_fma_f16 v2, -0.5, v2, v0
	v_add_f16_e32 v33, v111, v15
	v_fmac_f16_e32 v165, 0x3b9c, v34
	v_add_f16_e32 v34, v22, v5
	v_sub_f16_e32 v25, v23, v12
	v_sub_f16_e32 v26, v111, v15
	v_sub_f16_e32 v21, v7, v18
	v_sub_f16_e32 v22, v22, v5
	v_fmamk_f16 v5, v3, 0xbb9c, v2
	v_sub_f16_e32 v7, v14, v107
	v_sub_f16_e32 v12, v104, v19
	v_sub_f16_e32 v15, v109, v108
	v_fmac_f16_e32 v2, 0x3b9c, v3
	v_fmac_f16_e32 v1, 0x38b4, v27
	;; [unrolled: 1-line block ×3, first 2 shown]
	v_sub_f16_e32 v17, v110, v107
	v_add_f16_e32 v12, v12, v15
	v_fmac_f16_e32 v2, 0x38b4, v7
	v_add_f16_e32 v29, v161, v1
	v_sub_f16_e32 v23, v161, v1
	v_add_f16_e32 v1, v0, v104
	v_fmac_f16_e32 v5, 0x34f2, v12
	v_fmac_f16_e32 v2, 0x34f2, v12
	v_add_f16_e32 v12, v104, v109
	v_sub_f16_e32 v15, v108, v109
	v_add_f16_e32 v1, v1, v19
	v_sub_f16_e32 v18, v11, v106
	v_sub_f16_e32 v27, v162, v164
	v_fmac_f16_e32 v0, -0.5, v12
	v_sub_f16_e32 v12, v19, v104
	v_add_f16_e32 v1, v1, v108
	v_add_f16_e32 v35, v163, v165
	v_sub_f16_e32 v28, v163, v165
	v_fmamk_f16 v111, v7, 0x3b9c, v0
	v_fmac_f16_e32 v0, 0xbb9c, v7
	v_add_f16_e32 v7, v14, v107
	v_add_f16_e32 v12, v12, v15
	v_sub_f16_e32 v15, v103, v14
	v_fmac_f16_e32 v111, 0xb8b4, v3
	v_fmac_f16_e32 v0, 0x38b4, v3
	v_fma_f16 v161, -0.5, v7, v98
	v_sub_f16_e32 v7, v104, v109
	v_add_f16_e32 v15, v15, v17
	v_fmac_f16_e32 v111, 0x34f2, v12
	v_fmac_f16_e32 v0, 0x34f2, v12
	v_sub_f16_e32 v12, v19, v108
	v_fmamk_f16 v104, v7, 0x3b9c, v161
	v_fmac_f16_e32 v161, 0xbb9c, v7
	v_add_f16_e32 v3, v98, v103
	v_sub_f16_e32 v17, v16, v105
	v_add_f16_e32 v1, v1, v109
	v_fmac_f16_e32 v104, 0x38b4, v12
	v_fmac_f16_e32 v161, 0xb8b4, v12
	v_add_f16_e32 v3, v3, v14
	v_sub_f16_e32 v14, v14, v103
	v_add_f16_e32 v17, v17, v18
	v_fmac_f16_e32 v104, 0x34f2, v15
	v_fmac_f16_e32 v161, 0x34f2, v15
	v_add_f16_e32 v15, v103, v110
	v_add_f16_e32 v3, v3, v107
	v_sub_f16_e32 v18, v106, v11
	v_pack_b32_f16 v24, v24, v29
	v_pack_b32_f16 v29, v30, v31
	v_fmac_f16_e32 v98, -0.5, v15
	v_sub_f16_e32 v15, v107, v110
	v_add_f16_e32 v3, v3, v110
	v_pack_b32_f16 v36, v36, v37
	v_pack_b32_f16 v33, v33, v35
	v_fmamk_f16 v108, v12, 0xbb9c, v98
	v_fmac_f16_e32 v98, 0x3b9c, v12
	v_add_f16_e32 v12, v105, v106
	v_add_f16_e32 v14, v14, v15
	v_sub_f16_e32 v15, v13, v8
	v_fmac_f16_e32 v108, 0x38b4, v7
	v_fmac_f16_e32 v98, 0xb8b4, v7
	v_fma_f16 v103, -0.5, v12, v6
	v_sub_f16_e32 v12, v10, v4
	v_add_f16_e32 v7, v6, v16
	v_fmac_f16_e32 v108, 0x34f2, v14
	v_fmac_f16_e32 v98, 0x34f2, v14
	v_pack_b32_f16 v32, v32, v34
	v_fmamk_f16 v14, v12, 0xbb9c, v103
	v_fmac_f16_e32 v103, 0x3b9c, v12
	v_add_f16_e32 v7, v7, v105
	v_pack_b32_f16 v20, v20, v22
	v_pack_b32_f16 v21, v21, v23
	v_fmac_f16_e32 v14, 0xb8b4, v15
	v_fmac_f16_e32 v103, 0x38b4, v15
	v_add_f16_e32 v7, v7, v106
	v_fmac_f16_e32 v14, 0x34f2, v17
	v_fmac_f16_e32 v103, 0x34f2, v17
	v_add_f16_e32 v17, v16, v11
	v_add_f16_e32 v7, v7, v11
	v_sub_f16_e32 v11, v16, v11
	v_fmac_f16_e32 v6, -0.5, v17
	v_sub_f16_e32 v17, v105, v16
	v_sub_f16_e32 v16, v10, v13
	v_fmamk_f16 v107, v15, 0x3b9c, v6
	v_fmac_f16_e32 v6, 0xbb9c, v15
	v_add_f16_e32 v17, v17, v18
	v_add_f16_e32 v18, v1, v7
	v_fmac_f16_e32 v107, 0xb8b4, v12
	v_fmac_f16_e32 v6, 0x38b4, v12
	v_add_f16_e32 v12, v9, v10
	v_fmac_f16_e32 v107, 0x34f2, v17
	v_fmac_f16_e32 v6, 0x34f2, v17
	v_add_f16_e32 v12, v12, v13
	v_sub_f16_e32 v17, v4, v8
	v_add_f16_e32 v12, v12, v8
	v_add_f16_e32 v16, v16, v17
	;; [unrolled: 1-line block ×5, first 2 shown]
	v_fma_f16 v110, -0.5, v12, v9
	v_sub_f16_e32 v12, v105, v106
	v_pack_b32_f16 v18, v18, v19
	v_fmamk_f16 v15, v11, 0x3b9c, v110
	v_fmac_f16_e32 v110, 0xbb9c, v11
	v_fmac_f16_e32 v15, 0x38b4, v12
	;; [unrolled: 1-line block ×5, first 2 shown]
	v_add_f16_e32 v16, v10, v4
	v_sub_f16_e32 v10, v13, v10
	v_sub_f16_e32 v4, v8, v4
	v_mul_f16_e32 v8, 0xb8b4, v15
	v_mul_f16_e32 v162, 0xb8b4, v110
	v_fmac_f16_e32 v9, -0.5, v16
	v_mul_f16_e32 v110, 0xba79, v110
	v_add_f16_e32 v4, v10, v4
	v_mul_f16_e32 v163, 0x3a79, v15
	v_fmac_f16_e32 v162, 0xba79, v103
	v_fmamk_f16 v105, v12, 0xbb9c, v9
	v_fmac_f16_e32 v9, 0x3b9c, v12
	v_fmac_f16_e32 v110, 0x38b4, v103
	;; [unrolled: 1-line block ×6, first 2 shown]
	v_sub_f16_e32 v10, v1, v7
	v_sub_f16_e32 v1, v2, v162
	v_add_f16_e32 v16, v5, v8
	v_fmac_f16_e32 v105, 0x34f2, v4
	v_fmac_f16_e32 v9, 0x34f2, v4
	v_add_f16_e32 v4, v2, v162
	v_add_f16_e32 v17, v104, v163
	v_sub_f16_e32 v5, v5, v8
	v_mul_f16_e32 v11, 0xbb9c, v105
	v_mul_f16_e32 v105, 0x34f2, v105
	;; [unrolled: 1-line block ×3, first 2 shown]
	v_sub_f16_e32 v7, v104, v163
	v_pack_b32_f16 v16, v16, v17
	v_fmac_f16_e32 v11, 0x34f2, v107
	v_fmac_f16_e32 v105, 0x3b9c, v107
	v_mul_f16_e32 v107, 0xb4f2, v9
	v_fmac_f16_e32 v106, 0xb4f2, v6
	v_add_f16_e32 v9, v161, v110
	v_add_f16_e32 v13, v111, v11
	;; [unrolled: 1-line block ×3, first 2 shown]
	v_fmac_f16_e32 v107, 0x3b9c, v6
	v_sub_f16_e32 v6, v111, v11
	v_sub_f16_e32 v11, v3, v109
	v_add_f16_e32 v12, v0, v106
	v_sub_f16_e32 v0, v0, v106
	v_add_f16_e32 v14, v98, v107
	v_sub_f16_e32 v2, v98, v107
	v_pack_b32_f16 v98, v99, v102
	v_pack_b32_f16 v99, v100, v101
	v_sub_f16_e32 v8, v108, v105
	v_sub_f16_e32 v3, v161, v110
	v_pack_b32_f16 v4, v4, v9
	v_pack_b32_f16 v9, v10, v11
	ds_write2_b32 v174, v98, v99 offset1:30
	ds_write2_b32 v173, v24, v29 offset0:120 offset1:150
	v_pack_b32_f16 v24, v25, v27
	v_pack_b32_f16 v25, v26, v28
	ds_write2_b32 v173, v38, v36 offset1:30
	ds_write2_b32 v173, v33, v32 offset0:60 offset1:90
	ds_write2_b32 v176, v20, v21 offset0:112 offset1:142
	v_pack_b32_f16 v13, v13, v15
	ds_write2_b32 v173, v24, v25 offset0:180 offset1:210
	v_pack_b32_f16 v12, v12, v14
	;; [unrolled: 2-line block ×3, first 2 shown]
	v_pack_b32_f16 v5, v6, v8
	v_pack_b32_f16 v0, v0, v2
	;; [unrolled: 1-line block ×3, first 2 shown]
	ds_write2_b32 v172, v18, v16 offset1:30
	ds_write2_b32 v172, v13, v12 offset0:60 offset1:90
	ds_write2_b32 v172, v4, v5 offset0:180 offset1:210
	;; [unrolled: 1-line block ×3, first 2 shown]
	s_waitcnt lgkmcnt(0)
	s_barrier
	buffer_gl0_inv
	ds_read2_b32 v[31:32], v134 offset0:112 offset1:202
	ds_read2_b32 v[29:30], v140 offset0:108 offset1:198
	;; [unrolled: 1-line block ×8, first 2 shown]
	ds_read2_b32 v[8:9], v156 offset1:90
	ds_read2_b32 v[25:26], v145 offset0:56 offset1:146
	ds_read2_b32 v[27:28], v149 offset0:60 offset1:150
	;; [unrolled: 1-line block ×6, first 2 shown]
	s_waitcnt lgkmcnt(0)
	s_barrier
	buffer_gl0_inv
	v_lshrrev_b32_e32 v92, 16, v31
	v_lshrrev_b32_e32 v93, 16, v30
	;; [unrolled: 1-line block ×5, first 2 shown]
	v_mul_f16_sdwa v105, v57, v92 dst_sel:DWORD dst_unused:UNUSED_PAD src0_sel:WORD_1 src1_sel:DWORD
	v_lshrrev_b32_e32 v41, 16, v21
	v_lshrrev_b32_e32 v97, 16, v34
	;; [unrolled: 1-line block ×4, first 2 shown]
	v_fmac_f16_e32 v105, v57, v31
	v_mul_f16_sdwa v31, v57, v31 dst_sel:DWORD dst_unused:UNUSED_PAD src0_sel:WORD_1 src1_sel:DWORD
	v_mul_f16_sdwa v20, v54, v41 dst_sel:DWORD dst_unused:UNUSED_PAD src0_sel:WORD_1 src1_sel:DWORD
	v_lshrrev_b32_e32 v99, 16, v37
	v_lshrrev_b32_e32 v100, 16, v39
	;; [unrolled: 1-line block ×3, first 2 shown]
	v_fma_f16 v31, v57, v92, -v31
	v_mul_f16_sdwa v92, v70, v93 dst_sel:DWORD dst_unused:UNUSED_PAD src0_sel:WORD_1 src1_sel:DWORD
	v_fmac_f16_e32 v20, v54, v21
	v_mul_f16_sdwa v21, v54, v21 dst_sel:DWORD dst_unused:UNUSED_PAD src0_sel:WORD_1 src1_sel:DWORD
	v_lshrrev_b32_e32 v101, 16, v38
	v_lshrrev_b32_e32 v102, 16, v40
	v_fmac_f16_e32 v92, v70, v30
	v_mul_f16_sdwa v30, v70, v30 dst_sel:DWORD dst_unused:UNUSED_PAD src0_sel:WORD_1 src1_sel:DWORD
	v_fma_f16 v21, v54, v41, -v21
	v_mul_f16_sdwa v41, v55, v42 dst_sel:DWORD dst_unused:UNUSED_PAD src0_sel:WORD_1 src1_sel:DWORD
	v_lshrrev_b32_e32 v44, 16, v24
	v_lshrrev_b32_e32 v61, 16, v29
	v_fma_f16 v30, v70, v93, -v30
	v_mul_f16_sdwa v70, v71, v94 dst_sel:DWORD dst_unused:UNUSED_PAD src0_sel:WORD_1 src1_sel:DWORD
	v_mul_f16_sdwa v93, v69, v96 dst_sel:DWORD dst_unused:UNUSED_PAD src0_sel:WORD_1 src1_sel:DWORD
	v_fmac_f16_e32 v41, v55, v23
	v_mul_f16_sdwa v23, v55, v23 dst_sel:DWORD dst_unused:UNUSED_PAD src0_sel:WORD_1 src1_sel:DWORD
	v_lshrrev_b32_e32 v19, 16, v8
	v_fmac_f16_e32 v70, v71, v32
	v_mul_f16_sdwa v32, v71, v32 dst_sel:DWORD dst_unused:UNUSED_PAD src0_sel:WORD_1 src1_sel:DWORD
	v_fmac_f16_e32 v93, v69, v35
	v_fma_f16 v23, v55, v42, -v23
	v_mul_f16_sdwa v42, v52, v43 dst_sel:DWORD dst_unused:UNUSED_PAD src0_sel:WORD_1 src1_sel:DWORD
	v_lshrrev_b32_e32 v47, 16, v26
	v_fma_f16 v32, v71, v94, -v32
	v_mul_f16_sdwa v71, v68, v95 dst_sel:DWORD dst_unused:UNUSED_PAD src0_sel:WORD_1 src1_sel:DWORD
	v_mul_f16_sdwa v94, v66, v97 dst_sel:DWORD dst_unused:UNUSED_PAD src0_sel:WORD_1 src1_sel:DWORD
	v_fmac_f16_e32 v42, v52, v22
	v_mul_f16_sdwa v22, v52, v22 dst_sel:DWORD dst_unused:UNUSED_PAD src0_sel:WORD_1 src1_sel:DWORD
	v_mul_f16_sdwa v104, v56, v61 dst_sel:DWORD dst_unused:UNUSED_PAD src0_sel:WORD_1 src1_sel:DWORD
	v_fmac_f16_e32 v71, v68, v33
	v_mul_f16_sdwa v33, v68, v33 dst_sel:DWORD dst_unused:UNUSED_PAD src0_sel:WORD_1 src1_sel:DWORD
	v_fmac_f16_e32 v94, v66, v34
	v_fma_f16 v22, v52, v43, -v22
	v_mul_f16_sdwa v43, v53, v44 dst_sel:DWORD dst_unused:UNUSED_PAD src0_sel:WORD_1 src1_sel:DWORD
	v_mul_f16_sdwa v103, v58, v47 dst_sel:DWORD dst_unused:UNUSED_PAD src0_sel:WORD_1 src1_sel:DWORD
	v_fma_f16 v68, v68, v95, -v33
	v_mul_f16_sdwa v33, v69, v35 dst_sel:DWORD dst_unused:UNUSED_PAD src0_sel:WORD_1 src1_sel:DWORD
	v_mul_f16_sdwa v95, v67, v98 dst_sel:DWORD dst_unused:UNUSED_PAD src0_sel:WORD_1 src1_sel:DWORD
	v_fmac_f16_e32 v43, v53, v24
	v_mul_f16_sdwa v24, v53, v24 dst_sel:DWORD dst_unused:UNUSED_PAD src0_sel:WORD_1 src1_sel:DWORD
	v_fmac_f16_e32 v104, v56, v29
	v_fma_f16 v69, v69, v96, -v33
	v_mul_f16_sdwa v33, v66, v34 dst_sel:DWORD dst_unused:UNUSED_PAD src0_sel:WORD_1 src1_sel:DWORD
	v_fmac_f16_e32 v95, v67, v36
	v_mul_f16_sdwa v96, v64, v99 dst_sel:DWORD dst_unused:UNUSED_PAD src0_sel:WORD_1 src1_sel:DWORD
	v_fma_f16 v24, v53, v44, -v24
	v_mul_f16_sdwa v29, v56, v29 dst_sel:DWORD dst_unused:UNUSED_PAD src0_sel:WORD_1 src1_sel:DWORD
	v_fma_f16 v66, v66, v97, -v33
	v_mul_f16_sdwa v33, v67, v36 dst_sel:DWORD dst_unused:UNUSED_PAD src0_sel:WORD_1 src1_sel:DWORD
	v_fmac_f16_e32 v96, v64, v37
	v_mul_f16_sdwa v97, v65, v100 dst_sel:DWORD dst_unused:UNUSED_PAD src0_sel:WORD_1 src1_sel:DWORD
	v_lshrrev_b32_e32 v60, 16, v28
	v_fmac_f16_e32 v103, v58, v26
	v_fma_f16 v67, v67, v98, -v33
	v_mul_f16_sdwa v33, v64, v37 dst_sel:DWORD dst_unused:UNUSED_PAD src0_sel:WORD_1 src1_sel:DWORD
	v_fmac_f16_e32 v97, v65, v39
	v_mul_f16_sdwa v98, v62, v101 dst_sel:DWORD dst_unused:UNUSED_PAD src0_sel:WORD_1 src1_sel:DWORD
	v_mul_f16_sdwa v26, v58, v26 dst_sel:DWORD dst_unused:UNUSED_PAD src0_sel:WORD_1 src1_sel:DWORD
	v_fma_f16 v29, v56, v61, -v29
	v_fma_f16 v64, v64, v99, -v33
	v_mul_f16_sdwa v33, v65, v39 dst_sel:DWORD dst_unused:UNUSED_PAD src0_sel:WORD_1 src1_sel:DWORD
	v_fmac_f16_e32 v98, v62, v38
	v_mul_f16_sdwa v99, v63, v102 dst_sel:DWORD dst_unused:UNUSED_PAD src0_sel:WORD_1 src1_sel:DWORD
	v_fma_f16 v26, v58, v47, -v26
	v_mul_f16_sdwa v47, v59, v60 dst_sel:DWORD dst_unused:UNUSED_PAD src0_sel:WORD_1 src1_sel:DWORD
	v_fma_f16 v65, v65, v100, -v33
	v_mul_f16_sdwa v33, v62, v38 dst_sel:DWORD dst_unused:UNUSED_PAD src0_sel:WORD_1 src1_sel:DWORD
	v_fmac_f16_e32 v99, v63, v40
	v_lshrrev_b32_e32 v18, 16, v9
	v_fmac_f16_e32 v47, v59, v28
	v_mul_f16_sdwa v28, v59, v28 dst_sel:DWORD dst_unused:UNUSED_PAD src0_sel:WORD_1 src1_sel:DWORD
	v_fma_f16 v62, v62, v101, -v33
	v_mul_f16_sdwa v33, v63, v40 dst_sel:DWORD dst_unused:UNUSED_PAD src0_sel:WORD_1 src1_sel:DWORD
	v_lshrrev_b32_e32 v45, 16, v25
	v_lshrrev_b32_e32 v46, 16, v27
	v_fma_f16 v28, v59, v60, -v28
	v_lshrrev_b32_e32 v17, 16, v6
	v_fma_f16 v63, v63, v102, -v33
	v_add_f16_e32 v33, v8, v20
	v_mul_f16_sdwa v44, v50, v45 dst_sel:DWORD dst_unused:UNUSED_PAD src0_sel:WORD_1 src1_sel:DWORD
	v_lshrrev_b32_e32 v16, 16, v7
	v_lshrrev_b32_e32 v15, 16, v4
	;; [unrolled: 1-line block ×3, first 2 shown]
	v_add_f16_e32 v54, v33, v41
	v_add_f16_e32 v33, v20, v41
	v_fmac_f16_e32 v44, v50, v25
	v_mul_f16_sdwa v25, v50, v25 dst_sel:DWORD dst_unused:UNUSED_PAD src0_sel:WORD_1 src1_sel:DWORD
	v_lshrrev_b32_e32 v13, 16, v2
	v_lshrrev_b32_e32 v12, 16, v3
	v_fma_f16 v53, -0.5, v33, v8
	v_sub_f16_e32 v8, v21, v23
	v_fma_f16 v25, v50, v45, -v25
	v_mul_f16_sdwa v50, v51, v46 dst_sel:DWORD dst_unused:UNUSED_PAD src0_sel:WORD_1 src1_sel:DWORD
	v_lshrrev_b32_e32 v11, 16, v0
	v_lshrrev_b32_e32 v10, 16, v1
	v_fmamk_f16 v55, v8, 0xbaee, v53
	v_fmac_f16_e32 v53, 0x3aee, v8
	v_add_f16_e32 v8, v19, v21
	v_fmac_f16_e32 v50, v51, v27
	v_mul_f16_sdwa v27, v51, v27 dst_sel:DWORD dst_unused:UNUSED_PAD src0_sel:WORD_1 src1_sel:DWORD
	v_add_f16_e32 v56, v8, v23
	v_add_f16_e32 v8, v21, v23
	v_fma_f16 v27, v51, v46, -v27
	v_pack_b32_f16 v54, v54, v56
	v_fmac_f16_e32 v19, -0.5, v8
	v_sub_f16_e32 v8, v20, v41
	v_sub_f16_e32 v20, v62, v63
	v_fmamk_f16 v61, v8, 0x3aee, v19
	v_fmac_f16_e32 v19, 0xbaee, v8
	v_add_f16_e32 v8, v9, v42
	v_pack_b32_f16 v55, v55, v61
	v_pack_b32_f16 v19, v53, v19
	v_add_f16_e32 v59, v8, v43
	v_add_f16_e32 v8, v42, v43
	ds_write_b32 v156, v55 offset:1200
	ds_write_b32 v156, v19 offset:2400
	v_fmac_f16_e32 v9, -0.5, v8
	v_sub_f16_e32 v8, v22, v24
	v_fmamk_f16 v57, v8, 0xbaee, v9
	v_fmac_f16_e32 v9, 0x3aee, v8
	v_add_f16_e32 v8, v18, v22
	v_add_f16_e32 v60, v8, v24
	;; [unrolled: 1-line block ×4, first 2 shown]
	v_pack_b32_f16 v19, v59, v60
	v_fmac_f16_e32 v18, -0.5, v8
	v_sub_f16_e32 v8, v42, v43
	ds_write2_b32 v156, v54, v19 offset1:90
	v_fmamk_f16 v58, v8, 0x3aee, v18
	v_fmac_f16_e32 v18, 0xbaee, v8
	v_add_f16_e32 v8, v6, v44
	v_pack_b32_f16 v19, v57, v58
	v_pack_b32_f16 v9, v9, v18
	v_add_f16_e32 v51, v8, v50
	v_add_f16_e32 v8, v44, v50
	v_fma_f16 v42, -0.5, v8, v6
	v_sub_f16_e32 v6, v25, v27
	v_fmamk_f16 v45, v6, 0xbaee, v42
	v_fmac_f16_e32 v42, 0x3aee, v6
	v_add_f16_e32 v6, v17, v25
	v_add_f16_e32 v52, v6, v27
	;; [unrolled: 1-line block ×3, first 2 shown]
	v_pack_b32_f16 v18, v51, v52
	v_fmac_f16_e32 v17, -0.5, v6
	v_sub_f16_e32 v6, v44, v50
	ds_write_b32 v156, v18 offset:720
	v_fmamk_f16 v50, v6, 0x3aee, v17
	v_fmac_f16_e32 v17, 0xbaee, v6
	v_add_f16_e32 v6, v7, v103
	v_pack_b32_f16 v18, v45, v50
	v_pack_b32_f16 v17, v42, v17
	v_add_f16_e32 v43, v6, v47
	v_add_f16_e32 v6, v103, v47
	ds_write2_b32 v137, v19, v18 offset0:134 offset1:224
	ds_write2_b32 v120, v9, v17 offset0:50 offset1:140
	v_fmac_f16_e32 v7, -0.5, v6
	v_sub_f16_e32 v6, v26, v28
	v_fmamk_f16 v44, v6, 0xbaee, v7
	v_fmac_f16_e32 v7, 0x3aee, v6
	v_add_f16_e32 v6, v16, v26
	v_add_f16_e32 v46, v6, v28
	;; [unrolled: 1-line block ×3, first 2 shown]
	v_pack_b32_f16 v9, v43, v46
	v_fmac_f16_e32 v16, -0.5, v6
	v_sub_f16_e32 v6, v103, v47
	ds_write_b32 v178, v9
	v_fmamk_f16 v47, v6, 0x3aee, v16
	v_fmac_f16_e32 v16, 0xbaee, v6
	v_add_f16_e32 v6, v4, v104
	v_pack_b32_f16 v9, v44, v47
	v_pack_b32_f16 v7, v7, v16
	v_add_f16_e32 v36, v6, v105
	v_add_f16_e32 v6, v104, v105
	ds_write_b32 v178, v9 offset:1200
	ds_write_b32 v178, v7 offset:2400
	v_fma_f16 v37, -0.5, v6, v4
	v_sub_f16_e32 v4, v29, v31
	v_add_f16_e32 v6, v98, v99
	v_fmamk_f16 v38, v4, 0xbaee, v37
	v_fmac_f16_e32 v37, 0x3aee, v4
	v_add_f16_e32 v4, v15, v29
	v_add_f16_e32 v40, v4, v31
	;; [unrolled: 1-line block ×3, first 2 shown]
	v_pack_b32_f16 v7, v36, v40
	v_fmac_f16_e32 v15, -0.5, v4
	v_sub_f16_e32 v4, v104, v105
	v_fmamk_f16 v41, v4, 0x3aee, v15
	v_fmac_f16_e32 v15, 0xbaee, v4
	v_add_f16_e32 v4, v5, v92
	v_pack_b32_f16 v9, v38, v41
	v_pack_b32_f16 v15, v37, v15
	v_add_f16_e32 v35, v4, v70
	v_add_f16_e32 v4, v92, v70
	v_fmac_f16_e32 v5, -0.5, v4
	v_sub_f16_e32 v4, v30, v32
	v_fmamk_f16 v33, v4, 0xbaee, v5
	v_fmac_f16_e32 v5, 0x3aee, v4
	v_add_f16_e32 v4, v14, v30
	v_add_f16_e32 v39, v4, v32
	;; [unrolled: 1-line block ×3, first 2 shown]
	v_pack_b32_f16 v16, v35, v39
	v_fmac_f16_e32 v14, -0.5, v4
	v_sub_f16_e32 v4, v92, v70
	ds_write2_b32 v157, v7, v16 offset0:64 offset1:154
	v_fmamk_f16 v34, v4, 0x3aee, v14
	v_fmac_f16_e32 v14, 0xbaee, v4
	v_add_f16_e32 v4, v2, v71
	v_pack_b32_f16 v7, v33, v34
	v_pack_b32_f16 v5, v5, v14
	v_add_f16_e32 v28, v4, v93
	v_add_f16_e32 v4, v71, v93
	ds_write2_b32 v140, v9, v7 offset0:108 offset1:198
	ds_write2_b32 v121, v15, v5 offset0:24 offset1:114
	v_fma_f16 v24, -0.5, v4, v2
	v_sub_f16_e32 v2, v68, v69
	v_fmamk_f16 v27, v2, 0xbaee, v24
	v_fmac_f16_e32 v24, 0x3aee, v2
	v_add_f16_e32 v2, v13, v68
	v_add_f16_e32 v32, v2, v69
	;; [unrolled: 1-line block ×3, first 2 shown]
	v_pack_b32_f16 v5, v28, v32
	v_fmac_f16_e32 v13, -0.5, v2
	v_sub_f16_e32 v2, v71, v93
	ds_write_b32 v180, v5
	v_fmamk_f16 v31, v2, 0x3aee, v13
	v_fmac_f16_e32 v13, 0xbaee, v2
	v_add_f16_e32 v2, v3, v94
	v_pack_b32_f16 v5, v27, v31
	v_add_f16_e32 v25, v2, v95
	v_add_f16_e32 v2, v94, v95
	ds_write_b32 v180, v5 offset:1200
	v_pack_b32_f16 v5, v24, v13
	v_fmac_f16_e32 v3, -0.5, v2
	v_sub_f16_e32 v2, v66, v67
	ds_write_b32 v180, v5 offset:2400
	v_fmamk_f16 v26, v2, 0xbaee, v3
	v_fmac_f16_e32 v3, 0x3aee, v2
	v_add_f16_e32 v2, v12, v66
	v_add_f16_e32 v29, v2, v67
	v_add_f16_e32 v2, v66, v67
	v_pack_b32_f16 v5, v25, v29
	v_fmac_f16_e32 v12, -0.5, v2
	v_sub_f16_e32 v2, v94, v95
	ds_write_b32 v179, v5 offset:7200
	v_fmamk_f16 v30, v2, 0x3aee, v12
	v_fmac_f16_e32 v12, 0xbaee, v2
	v_add_f16_e32 v2, v0, v96
	v_pack_b32_f16 v5, v26, v30
	v_pack_b32_f16 v3, v3, v12
	v_add_f16_e32 v8, v2, v97
	v_add_f16_e32 v2, v96, v97
	ds_write_b32 v179, v5 offset:8400
	ds_write_b32 v179, v3 offset:9600
	v_fma_f16 v0, -0.5, v2, v0
	v_sub_f16_e32 v2, v64, v65
	v_fmamk_f16 v4, v2, 0xbaee, v0
	v_fmac_f16_e32 v0, 0x3aee, v2
	v_add_f16_e32 v2, v11, v64
	v_add_f16_e32 v23, v2, v65
	;; [unrolled: 1-line block ×3, first 2 shown]
	v_pack_b32_f16 v3, v8, v23
	v_fmac_f16_e32 v11, -0.5, v2
	v_sub_f16_e32 v2, v96, v97
	ds_write_b32 v182, v3 offset:7200
	v_fmamk_f16 v21, v2, 0x3aee, v11
	v_fmac_f16_e32 v11, 0xbaee, v2
	v_add_f16_e32 v2, v1, v98
	v_fmac_f16_e32 v1, -0.5, v6
	v_pack_b32_f16 v3, v4, v21
	v_pack_b32_f16 v0, v0, v11
	v_add_f16_e32 v2, v2, v99
	v_fmamk_f16 v6, v20, 0xbaee, v1
	v_fmac_f16_e32 v1, 0x3aee, v20
	v_add_f16_e32 v20, v10, v62
	v_fmac_f16_e32 v10, -0.5, v22
	v_sub_f16_e32 v62, v98, v99
	ds_write_b32 v182, v0 offset:9600
	ds_write_b32 v182, v3 offset:8400
	v_add_f16_e32 v20, v20, v63
	v_fmamk_f16 v22, v62, 0x3aee, v10
	v_fmac_f16_e32 v10, 0xbaee, v62
	v_pack_b32_f16 v0, v2, v20
	ds_write_b32 v181, v0 offset:7200
	v_pack_b32_f16 v0, v6, v22
	ds_write_b32 v181, v0 offset:8400
	;; [unrolled: 2-line block ×3, first 2 shown]
	s_waitcnt lgkmcnt(0)
	s_barrier
	buffer_gl0_inv
	ds_read2_b32 v[21:22], v160 offset0:132 offset1:222
	ds_read2_b32 v[23:24], v153 offset0:8 offset1:98
	;; [unrolled: 1-line block ×10, first 2 shown]
	ds_read2_b32 v[8:9], v156 offset1:90
	ds_read2_b32 v[4:5], v147 offset0:52 offset1:142
	ds_read2_b32 v[6:7], v137 offset0:104 offset1:194
	;; [unrolled: 1-line block ×4, first 2 shown]
	s_waitcnt lgkmcnt(14)
	v_lshrrev_b32_e32 v41, 16, v21
	s_waitcnt lgkmcnt(13)
	v_lshrrev_b32_e32 v42, 16, v23
	v_lshrrev_b32_e32 v43, 16, v22
	;; [unrolled: 1-line block ×3, first 2 shown]
	s_waitcnt lgkmcnt(12)
	v_lshrrev_b32_e32 v45, 16, v25
	v_mul_f16_sdwa v20, v72, v41 dst_sel:DWORD dst_unused:UNUSED_PAD src0_sel:WORD_1 src1_sel:DWORD
	s_waitcnt lgkmcnt(11)
	v_lshrrev_b32_e32 v46, 16, v27
	v_lshrrev_b32_e32 v47, 16, v26
	;; [unrolled: 1-line block ×3, first 2 shown]
	s_waitcnt lgkmcnt(10)
	v_lshrrev_b32_e32 v51, 16, v29
	v_fmac_f16_e32 v20, v72, v21
	v_mul_f16_sdwa v21, v72, v21 dst_sel:DWORD dst_unused:UNUSED_PAD src0_sel:WORD_1 src1_sel:DWORD
	s_waitcnt lgkmcnt(9)
	v_lshrrev_b32_e32 v52, 16, v31
	v_lshrrev_b32_e32 v53, 16, v30
	;; [unrolled: 1-line block ×3, first 2 shown]
	s_waitcnt lgkmcnt(8)
	v_lshrrev_b32_e32 v55, 16, v33
	v_fma_f16 v21, v72, v41, -v21
	v_mul_f16_sdwa v41, v73, v42 dst_sel:DWORD dst_unused:UNUSED_PAD src0_sel:WORD_1 src1_sel:DWORD
	v_mul_f16_sdwa v63, v85, v52 dst_sel:DWORD dst_unused:UNUSED_PAD src0_sel:WORD_1 src1_sel:DWORD
	;; [unrolled: 1-line block ×4, first 2 shown]
	s_waitcnt lgkmcnt(7)
	v_lshrrev_b32_e32 v56, 16, v35
	v_fmac_f16_e32 v41, v73, v23
	v_mul_f16_sdwa v23, v73, v23 dst_sel:DWORD dst_unused:UNUSED_PAD src0_sel:WORD_1 src1_sel:DWORD
	v_lshrrev_b32_e32 v57, 16, v34
	v_lshrrev_b32_e32 v58, 16, v36
	s_waitcnt lgkmcnt(6)
	v_lshrrev_b32_e32 v59, 16, v37
	s_waitcnt lgkmcnt(5)
	v_lshrrev_b32_e32 v60, 16, v39
	v_fma_f16 v23, v73, v42, -v23
	v_mul_f16_sdwa v42, v88, v43 dst_sel:DWORD dst_unused:UNUSED_PAD src0_sel:WORD_1 src1_sel:DWORD
	v_mul_f16_sdwa v70, v78, v57 dst_sel:DWORD dst_unused:UNUSED_PAD src0_sel:WORD_1 src1_sel:DWORD
	;; [unrolled: 1-line block ×3, first 2 shown]
	v_lshrrev_b32_e32 v61, 16, v38
	v_lshrrev_b32_e32 v62, 16, v40
	v_fmac_f16_e32 v42, v88, v22
	v_mul_f16_sdwa v22, v88, v22 dst_sel:DWORD dst_unused:UNUSED_PAD src0_sel:WORD_1 src1_sel:DWORD
	v_fmac_f16_e32 v70, v78, v34
	v_fmac_f16_e32 v72, v79, v36
	s_waitcnt lgkmcnt(4)
	v_lshrrev_b32_e32 v19, 16, v8
	v_mul_f16_sdwa v66, v80, v55 dst_sel:DWORD dst_unused:UNUSED_PAD src0_sel:WORD_1 src1_sel:DWORD
	v_fma_f16 v22, v88, v43, -v22
	v_mul_f16_sdwa v43, v89, v44 dst_sel:DWORD dst_unused:UNUSED_PAD src0_sel:WORD_1 src1_sel:DWORD
	v_mul_f16_sdwa v68, v81, v56 dst_sel:DWORD dst_unused:UNUSED_PAD src0_sel:WORD_1 src1_sel:DWORD
	v_lshrrev_b32_e32 v18, 16, v9
	v_fmac_f16_e32 v66, v80, v33
	v_fmac_f16_e32 v65, v83, v32
	v_fmac_f16_e32 v43, v89, v24
	v_mul_f16_sdwa v24, v89, v24 dst_sel:DWORD dst_unused:UNUSED_PAD src0_sel:WORD_1 src1_sel:DWORD
	s_waitcnt lgkmcnt(3)
	v_lshrrev_b32_e32 v14, 16, v4
	v_fmac_f16_e32 v64, v82, v30
	v_fmac_f16_e32 v63, v85, v31
	v_lshrrev_b32_e32 v15, 16, v5
	v_fma_f16 v24, v89, v44, -v24
	v_mul_f16_sdwa v44, v90, v45 dst_sel:DWORD dst_unused:UNUSED_PAD src0_sel:WORD_1 src1_sel:DWORD
	v_fmac_f16_e32 v68, v81, v35
	s_waitcnt lgkmcnt(2)
	v_lshrrev_b32_e32 v16, 16, v6
	v_lshrrev_b32_e32 v17, 16, v7
	s_waitcnt lgkmcnt(1)
	v_lshrrev_b32_e32 v13, 16, v2
	v_fmac_f16_e32 v44, v90, v25
	v_mul_f16_sdwa v25, v90, v25 dst_sel:DWORD dst_unused:UNUSED_PAD src0_sel:WORD_1 src1_sel:DWORD
	v_lshrrev_b32_e32 v12, 16, v3
	s_waitcnt lgkmcnt(0)
	v_lshrrev_b32_e32 v11, 16, v0
	v_lshrrev_b32_e32 v10, 16, v1
	v_fma_f16 v25, v90, v45, -v25
	v_mul_f16_sdwa v45, v91, v46 dst_sel:DWORD dst_unused:UNUSED_PAD src0_sel:WORD_1 src1_sel:DWORD
	v_fmac_f16_e32 v45, v91, v27
	v_mul_f16_sdwa v27, v91, v27 dst_sel:DWORD dst_unused:UNUSED_PAD src0_sel:WORD_1 src1_sel:DWORD
	v_fma_f16 v27, v91, v46, -v27
	v_mul_f16_sdwa v46, v86, v47 dst_sel:DWORD dst_unused:UNUSED_PAD src0_sel:WORD_1 src1_sel:DWORD
	v_fmac_f16_e32 v46, v86, v26
	v_mul_f16_sdwa v26, v86, v26 dst_sel:DWORD dst_unused:UNUSED_PAD src0_sel:WORD_1 src1_sel:DWORD
	;; [unrolled: 4-line block ×4, first 2 shown]
	v_fma_f16 v51, v84, v51, -v29
	v_mul_f16_sdwa v29, v85, v31 dst_sel:DWORD dst_unused:UNUSED_PAD src0_sel:WORD_1 src1_sel:DWORD
	v_fma_f16 v52, v85, v52, -v29
	v_mul_f16_sdwa v29, v82, v30 dst_sel:DWORD dst_unused:UNUSED_PAD src0_sel:WORD_1 src1_sel:DWORD
	;; [unrolled: 2-line block ×7, first 2 shown]
	v_mul_f16_sdwa v78, v76, v59 dst_sel:DWORD dst_unused:UNUSED_PAD src0_sel:WORD_1 src1_sel:DWORD
	v_fma_f16 v73, v79, v58, -v29
	v_mul_f16_sdwa v29, v76, v37 dst_sel:DWORD dst_unused:UNUSED_PAD src0_sel:WORD_1 src1_sel:DWORD
	v_fmac_f16_e32 v78, v76, v37
	v_mul_f16_sdwa v79, v77, v60 dst_sel:DWORD dst_unused:UNUSED_PAD src0_sel:WORD_1 src1_sel:DWORD
	v_fma_f16 v76, v76, v59, -v29
	v_mul_f16_sdwa v29, v77, v39 dst_sel:DWORD dst_unused:UNUSED_PAD src0_sel:WORD_1 src1_sel:DWORD
	v_fmac_f16_e32 v79, v77, v39
	v_fma_f16 v60, v77, v60, -v29
	v_mul_f16_sdwa v29, v74, v38 dst_sel:DWORD dst_unused:UNUSED_PAD src0_sel:WORD_1 src1_sel:DWORD
	v_mul_f16_sdwa v77, v74, v61 dst_sel:DWORD dst_unused:UNUSED_PAD src0_sel:WORD_1 src1_sel:DWORD
	v_fma_f16 v61, v74, v61, -v29
	v_mul_f16_sdwa v29, v75, v40 dst_sel:DWORD dst_unused:UNUSED_PAD src0_sel:WORD_1 src1_sel:DWORD
	v_fmac_f16_e32 v77, v74, v38
	v_mul_f16_sdwa v74, v75, v62 dst_sel:DWORD dst_unused:UNUSED_PAD src0_sel:WORD_1 src1_sel:DWORD
	v_fma_f16 v62, v75, v62, -v29
	v_add_f16_e32 v29, v8, v20
	v_fmac_f16_e32 v74, v75, v40
	v_add_f16_e32 v75, v29, v41
	v_add_f16_e32 v29, v20, v41
	v_fma_f16 v55, -0.5, v29, v8
	v_sub_f16_e32 v8, v21, v23
	v_fmamk_f16 v56, v8, 0xbaee, v55
	v_fmac_f16_e32 v55, 0x3aee, v8
	v_add_f16_e32 v8, v19, v21
	v_add_f16_e32 v80, v8, v23
	v_add_f16_e32 v8, v21, v23
	v_sub_f16_e32 v21, v61, v62
	v_add_f16_e32 v23, v61, v62
	v_fmac_f16_e32 v19, -0.5, v8
	v_sub_f16_e32 v8, v20, v41
	v_fmamk_f16 v59, v8, 0x3aee, v19
	v_fmac_f16_e32 v19, 0xbaee, v8
	v_add_f16_e32 v8, v9, v42
	v_pack_b32_f16 v56, v56, v59
	v_pack_b32_f16 v19, v55, v19
	v_add_f16_e32 v57, v8, v43
	v_add_f16_e32 v8, v42, v43
	ds_write_b32 v156, v56 offset:3600
	ds_write_b32 v156, v19 offset:7200
	v_fmac_f16_e32 v9, -0.5, v8
	v_sub_f16_e32 v8, v22, v24
	v_fmamk_f16 v32, v8, 0xbaee, v9
	v_fmac_f16_e32 v9, 0x3aee, v8
	v_add_f16_e32 v8, v18, v22
	v_add_f16_e32 v58, v8, v24
	;; [unrolled: 1-line block ×3, first 2 shown]
	v_pack_b32_f16 v19, v57, v58
	v_fmac_f16_e32 v18, -0.5, v8
	v_sub_f16_e32 v8, v42, v43
	v_fmamk_f16 v36, v8, 0x3aee, v18
	v_fmac_f16_e32 v18, 0xbaee, v8
	v_add_f16_e32 v8, v4, v44
	v_pack_b32_f16 v9, v9, v18
	v_add_f16_e32 v37, v8, v45
	v_add_f16_e32 v8, v44, v45
	v_fma_f16 v29, -0.5, v8, v4
	v_sub_f16_e32 v4, v25, v27
	v_add_f16_e32 v8, v77, v74
	v_fmamk_f16 v30, v4, 0xbaee, v29
	v_fmac_f16_e32 v29, 0x3aee, v4
	v_add_f16_e32 v4, v14, v25
	v_add_f16_e32 v42, v4, v27
	;; [unrolled: 1-line block ×3, first 2 shown]
	v_pack_b32_f16 v18, v37, v42
	v_fmac_f16_e32 v14, -0.5, v4
	v_sub_f16_e32 v4, v44, v45
	v_fmamk_f16 v33, v4, 0x3aee, v14
	v_fmac_f16_e32 v14, 0xbaee, v4
	v_add_f16_e32 v4, v5, v46
	v_pack_b32_f16 v30, v30, v33
	v_pack_b32_f16 v14, v29, v14
	v_add_f16_e32 v31, v4, v47
	v_add_f16_e32 v4, v46, v47
	v_fmac_f16_e32 v5, -0.5, v4
	v_sub_f16_e32 v4, v26, v28
	v_fmamk_f16 v34, v4, 0xbaee, v5
	v_fmac_f16_e32 v5, 0x3aee, v4
	v_add_f16_e32 v4, v15, v26
	v_add_f16_e32 v35, v4, v28
	;; [unrolled: 1-line block ×3, first 2 shown]
	v_fmac_f16_e32 v15, -0.5, v4
	v_sub_f16_e32 v4, v46, v47
	v_fmamk_f16 v38, v4, 0x3aee, v15
	v_fmac_f16_e32 v15, 0xbaee, v4
	v_add_f16_e32 v4, v6, v50
	v_pack_b32_f16 v5, v5, v15
	v_add_f16_e32 v40, v4, v63
	v_add_f16_e32 v4, v50, v63
	v_fma_f16 v39, -0.5, v4, v6
	v_sub_f16_e32 v4, v51, v52
	v_fmamk_f16 v41, v4, 0xbaee, v39
	v_fmac_f16_e32 v39, 0x3aee, v4
	v_add_f16_e32 v4, v16, v51
	v_add_f16_e32 v43, v4, v52
	;; [unrolled: 1-line block ×3, first 2 shown]
	v_fmac_f16_e32 v16, -0.5, v4
	v_sub_f16_e32 v4, v50, v63
	v_fmamk_f16 v45, v4, 0x3aee, v16
	v_fmac_f16_e32 v16, 0xbaee, v4
	v_add_f16_e32 v4, v7, v64
	v_pack_b32_f16 v15, v41, v45
	v_add_f16_e32 v44, v4, v65
	v_add_f16_e32 v4, v64, v65
	v_fmac_f16_e32 v7, -0.5, v4
	v_sub_f16_e32 v4, v53, v54
	v_fmamk_f16 v46, v4, 0xbaee, v7
	v_fmac_f16_e32 v7, 0x3aee, v4
	v_add_f16_e32 v4, v17, v53
	v_add_f16_e32 v47, v4, v54
	;; [unrolled: 1-line block ×3, first 2 shown]
	v_fmac_f16_e32 v17, -0.5, v4
	v_sub_f16_e32 v4, v64, v65
	v_fmamk_f16 v50, v4, 0x3aee, v17
	v_fmac_f16_e32 v17, 0xbaee, v4
	v_add_f16_e32 v4, v2, v66
	v_pack_b32_f16 v7, v7, v17
	v_add_f16_e32 v51, v4, v68
	v_add_f16_e32 v4, v66, v68
	v_fma_f16 v28, -0.5, v4, v2
	v_sub_f16_e32 v2, v67, v69
	v_sub_f16_e32 v4, v76, v60
	v_fmamk_f16 v52, v2, 0xbaee, v28
	v_fmac_f16_e32 v28, 0x3aee, v2
	v_add_f16_e32 v2, v13, v67
	v_add_f16_e32 v53, v2, v69
	v_add_f16_e32 v2, v67, v69
	v_fmac_f16_e32 v13, -0.5, v2
	v_sub_f16_e32 v2, v66, v68
	v_fmamk_f16 v54, v2, 0x3aee, v13
	v_fmac_f16_e32 v13, 0xbaee, v2
	v_add_f16_e32 v2, v3, v70
	v_add_f16_e32 v24, v2, v72
	v_add_f16_e32 v2, v70, v72
	v_fmac_f16_e32 v3, -0.5, v2
	;; [unrolled: 7-line block ×3, first 2 shown]
	v_sub_f16_e32 v2, v70, v72
	v_fmamk_f16 v27, v2, 0x3aee, v12
	v_fmac_f16_e32 v12, 0xbaee, v2
	v_add_f16_e32 v2, v0, v78
	v_pack_b32_f16 v3, v3, v12
	v_add_f16_e32 v6, v2, v79
	v_add_f16_e32 v2, v78, v79
	v_fma_f16 v0, -0.5, v2, v0
	v_fmamk_f16 v2, v4, 0xbaee, v0
	v_fmac_f16_e32 v0, 0x3aee, v4
	v_add_f16_e32 v4, v11, v76
	v_add_f16_e32 v22, v4, v60
	;; [unrolled: 1-line block ×3, first 2 shown]
	v_sub_f16_e32 v60, v77, v74
	v_pack_b32_f16 v6, v6, v22
	v_fmac_f16_e32 v11, -0.5, v4
	v_sub_f16_e32 v4, v78, v79
	v_fmamk_f16 v20, v4, 0x3aee, v11
	v_fmac_f16_e32 v11, 0xbaee, v4
	v_add_f16_e32 v4, v1, v77
	v_fmac_f16_e32 v1, -0.5, v8
	v_pack_b32_f16 v2, v2, v20
	v_pack_b32_f16 v0, v0, v11
	v_add_f16_e32 v4, v4, v74
	v_fmamk_f16 v8, v21, 0xbaee, v1
	v_fmac_f16_e32 v1, 0x3aee, v21
	v_add_f16_e32 v21, v10, v61
	v_fmac_f16_e32 v10, -0.5, v23
	v_add_f16_e32 v21, v21, v62
	v_fmamk_f16 v23, v60, 0x3aee, v10
	v_fmac_f16_e32 v10, 0xbaee, v60
	v_pack_b32_f16 v60, v75, v80
	ds_write2_b32 v156, v60, v19 offset1:90
	ds_write2_b32 v153, v9, v14 offset0:98 offset1:188
	v_pack_b32_f16 v9, v31, v35
	v_pack_b32_f16 v14, v40, v43
	ds_write2_b32 v126, v3, v0 offset0:126 offset1:216
	v_pack_b32_f16 v0, v4, v21
	v_pack_b32_f16 v19, v32, v36
	ds_write2_b32 v147, v18, v9 offset0:52 offset1:142
	v_pack_b32_f16 v9, v34, v38
	ds_write2_b32 v120, v6, v0 offset0:80 offset1:170
	;; [unrolled: 2-line block ×3, first 2 shown]
	ds_write2_b32 v145, v9, v15 offset0:146 offset1:236
	v_pack_b32_f16 v9, v39, v16
	ds_write_b32 v156, v0 offset:6840
	v_pack_b32_f16 v0, v1, v10
	ds_write2_b32 v134, v5, v9 offset0:22 offset1:112
	v_pack_b32_f16 v5, v44, v47
	v_pack_b32_f16 v9, v51, v53
	ds_write_b32 v156, v0 offset:10440
	ds_write2_b32 v137, v14, v5 offset0:104 offset1:194
	v_pack_b32_f16 v5, v46, v50
	v_pack_b32_f16 v14, v52, v54
	ds_write2_b32 v127, v5, v14 offset0:70 offset1:160
	v_pack_b32_f16 v5, v28, v13
	ds_write2_b32 v158, v7, v5 offset0:74 offset1:164
	;; [unrolled: 2-line block ×4, first 2 shown]
	s_waitcnt lgkmcnt(0)
	s_barrier
	buffer_gl0_inv
	ds_read2_b32 v[2:3], v156 offset1:90
	s_waitcnt lgkmcnt(0)
	v_lshrrev_b32_e32 v4, 16, v2
	v_mul_f16_sdwa v0, v155, v4 dst_sel:DWORD dst_unused:UNUSED_PAD src0_sel:WORD_1 src1_sel:DWORD
	v_fmac_f16_e32 v0, v155, v2
	v_cvt_f32_f16_e32 v0, v0
	v_cvt_f64_f32_e32 v[0:1], v0
	v_mul_f64 v[0:1], v[0:1], s[2:3]
	v_and_or_b32 v0, 0x1ff, v1, v0
	v_lshrrev_b32_e32 v5, 8, v1
	v_bfe_u32 v6, v1, 20, 11
	v_lshrrev_b32_e32 v1, 16, v1
	v_cmp_ne_u32_e32 vcc_lo, 0, v0
	v_sub_nc_u32_e32 v7, 0x3f1, v6
	v_add_nc_u32_e32 v6, 0xfffffc10, v6
	v_cndmask_b32_e64 v0, 0, 1, vcc_lo
	v_med3_i32 v7, v7, 0, 13
	v_and_or_b32 v0, 0xffe, v5, v0
	v_or_b32_e32 v5, 0x1000, v0
	v_lshrrev_b32_e32 v8, v7, v5
	v_lshlrev_b32_e32 v7, v7, v8
	v_cmp_ne_u32_e32 vcc_lo, v7, v5
	v_lshl_or_b32 v7, v6, 12, v0
	v_cndmask_b32_e64 v5, 0, 1, vcc_lo
	v_cmp_gt_i32_e32 vcc_lo, 1, v6
	v_or_b32_e32 v5, v8, v5
	v_cndmask_b32_e32 v5, v7, v5, vcc_lo
	v_and_b32_e32 v7, 7, v5
	v_lshrrev_b32_e32 v5, 2, v5
	v_cmp_lt_i32_e32 vcc_lo, 5, v7
	v_cmp_eq_u32_e64 s0, 3, v7
	s_or_b32 vcc_lo, s0, vcc_lo
	v_add_co_ci_u32_e32 v5, vcc_lo, 0, v5, vcc_lo
	v_cmp_gt_i32_e32 vcc_lo, 31, v6
	v_cndmask_b32_e32 v5, 0x7c00, v5, vcc_lo
	v_cmp_ne_u32_e32 vcc_lo, 0, v0
	v_cndmask_b32_e64 v0, 0, 1, vcc_lo
	v_cmp_eq_u32_e32 vcc_lo, 0x40f, v6
	v_lshl_or_b32 v0, v0, 9, 0x7c00
	v_cndmask_b32_e32 v0, v5, v0, vcc_lo
	v_and_or_b32 v5, 0x8000, v1, v0
	v_mul_f16_sdwa v0, v155, v2 dst_sel:DWORD dst_unused:UNUSED_PAD src0_sel:WORD_1 src1_sel:DWORD
	v_fma_f16 v0, v155, v4, -v0
	v_cvt_f32_f16_e32 v0, v0
	v_cvt_f64_f32_e32 v[0:1], v0
	v_mul_f64 v[0:1], v[0:1], s[2:3]
	v_and_or_b32 v0, 0x1ff, v1, v0
	v_lshrrev_b32_e32 v2, 8, v1
	v_bfe_u32 v4, v1, 20, 11
	v_lshrrev_b32_e32 v1, 16, v1
	v_cmp_ne_u32_e32 vcc_lo, 0, v0
	v_sub_nc_u32_e32 v6, 0x3f1, v4
	v_add_nc_u32_e32 v4, 0xfffffc10, v4
	v_cndmask_b32_e64 v0, 0, 1, vcc_lo
	v_med3_i32 v6, v6, 0, 13
	v_and_or_b32 v0, 0xffe, v2, v0
	v_or_b32_e32 v2, 0x1000, v0
	v_lshrrev_b32_e32 v7, v6, v2
	v_lshlrev_b32_e32 v6, v6, v7
	v_cmp_ne_u32_e32 vcc_lo, v6, v2
	v_lshl_or_b32 v6, v4, 12, v0
	v_cndmask_b32_e64 v2, 0, 1, vcc_lo
	v_cmp_gt_i32_e32 vcc_lo, 1, v4
	v_or_b32_e32 v2, v7, v2
	v_cndmask_b32_e32 v2, v6, v2, vcc_lo
	v_and_b32_e32 v6, 7, v2
	v_lshrrev_b32_e32 v2, 2, v2
	v_cmp_lt_i32_e32 vcc_lo, 5, v6
	v_cmp_eq_u32_e64 s0, 3, v6
	s_or_b32 vcc_lo, s0, vcc_lo
	v_add_co_ci_u32_e32 v2, vcc_lo, 0, v2, vcc_lo
	v_cmp_gt_i32_e32 vcc_lo, 31, v4
	v_cndmask_b32_e32 v2, 0x7c00, v2, vcc_lo
	v_cmp_ne_u32_e32 vcc_lo, 0, v0
	v_cndmask_b32_e64 v0, 0, 1, vcc_lo
	v_cmp_eq_u32_e32 vcc_lo, 0x40f, v4
	v_lshl_or_b32 v0, v0, 9, 0x7c00
	v_cndmask_b32_e32 v0, v2, v0, vcc_lo
	v_and_or_b32 v4, 0x8000, v1, v0
	v_mad_u64_u32 v[0:1], null, s4, v154, 0
	v_mad_u64_u32 v[1:2], null, s5, v154, v[1:2]
	v_and_b32_e32 v2, 0xffff, v5
	v_lshl_or_b32 v2, v4, 16, v2
	v_lshlrev_b64 v[4:5], 2, v[48:49]
	v_lshlrev_b64 v[0:1], 2, v[0:1]
	v_add_co_u32 v4, vcc_lo, s12, v4
	v_add_co_ci_u32_e32 v5, vcc_lo, s13, v5, vcc_lo
	v_add_co_u32 v4, vcc_lo, v4, v0
	v_add_co_ci_u32_e32 v5, vcc_lo, v5, v1, vcc_lo
	global_store_dword v[4:5], v2, off
	ds_read2_b32 v[1:2], v160 offset0:132 offset1:222
	s_waitcnt lgkmcnt(0)
	v_lshrrev_b32_e32 v0, 16, v1
	v_mul_f16_sdwa v6, v152, v0 dst_sel:DWORD dst_unused:UNUSED_PAD src0_sel:WORD_1 src1_sel:DWORD
	v_fmac_f16_e32 v6, v152, v1
	v_mul_f16_sdwa v1, v152, v1 dst_sel:DWORD dst_unused:UNUSED_PAD src0_sel:WORD_1 src1_sel:DWORD
	v_cvt_f32_f16_e32 v6, v6
	v_fma_f16 v0, v152, v0, -v1
	v_cvt_f64_f32_e32 v[6:7], v6
	v_cvt_f32_f16_e32 v0, v0
	v_cvt_f64_f32_e32 v[0:1], v0
	v_mul_f64 v[6:7], v[6:7], s[2:3]
	v_mul_f64 v[0:1], v[0:1], s[2:3]
	v_and_or_b32 v6, 0x1ff, v7, v6
	v_lshrrev_b32_e32 v8, 8, v7
	v_bfe_u32 v9, v7, 20, 11
	v_lshrrev_b32_e32 v7, 16, v7
	v_cmp_ne_u32_e32 vcc_lo, 0, v6
	v_and_or_b32 v0, 0x1ff, v1, v0
	v_sub_nc_u32_e32 v10, 0x3f1, v9
	v_add_nc_u32_e32 v9, 0xfffffc10, v9
	v_cndmask_b32_e64 v6, 0, 1, vcc_lo
	v_med3_i32 v10, v10, 0, 13
	v_and_or_b32 v6, 0xffe, v8, v6
	v_or_b32_e32 v8, 0x1000, v6
	v_lshrrev_b32_e32 v11, v10, v8
	v_lshlrev_b32_e32 v10, v10, v11
	v_cmp_ne_u32_e32 vcc_lo, v10, v8
	v_lshl_or_b32 v10, v9, 12, v6
	v_cndmask_b32_e64 v8, 0, 1, vcc_lo
	v_cmp_gt_i32_e32 vcc_lo, 1, v9
	v_or_b32_e32 v8, v11, v8
	v_cndmask_b32_e32 v8, v10, v8, vcc_lo
	v_and_b32_e32 v10, 7, v8
	v_lshrrev_b32_e32 v8, 2, v8
	v_cmp_lt_i32_e32 vcc_lo, 5, v10
	v_cmp_eq_u32_e64 s0, 3, v10
	s_or_b32 vcc_lo, s0, vcc_lo
	v_add_co_ci_u32_e32 v8, vcc_lo, 0, v8, vcc_lo
	v_cmp_gt_i32_e32 vcc_lo, 31, v9
	v_cndmask_b32_e32 v8, 0x7c00, v8, vcc_lo
	v_cmp_ne_u32_e32 vcc_lo, 0, v6
	v_cndmask_b32_e64 v6, 0, 1, vcc_lo
	v_cmp_eq_u32_e32 vcc_lo, 0x40f, v9
	v_lshl_or_b32 v6, v6, 9, 0x7c00
	v_cndmask_b32_e32 v6, v8, v6, vcc_lo
	v_cmp_ne_u32_e32 vcc_lo, 0, v0
	v_bfe_u32 v8, v1, 20, 11
	v_and_or_b32 v6, 0x8000, v7, v6
	v_cndmask_b32_e64 v0, 0, 1, vcc_lo
	v_lshrrev_b32_e32 v7, 8, v1
	v_sub_nc_u32_e32 v9, 0x3f1, v8
	v_add_nc_u32_e32 v8, 0xfffffc10, v8
	v_lshrrev_b32_e32 v1, 16, v1
	v_and_or_b32 v0, 0xffe, v7, v0
	v_med3_i32 v9, v9, 0, 13
	v_or_b32_e32 v7, 0x1000, v0
	v_lshrrev_b32_e32 v10, v9, v7
	v_lshlrev_b32_e32 v9, v9, v10
	v_cmp_ne_u32_e32 vcc_lo, v9, v7
	v_lshl_or_b32 v9, v8, 12, v0
	v_cndmask_b32_e64 v7, 0, 1, vcc_lo
	v_cmp_gt_i32_e32 vcc_lo, 1, v8
	v_or_b32_e32 v7, v10, v7
	v_cndmask_b32_e32 v7, v9, v7, vcc_lo
	v_and_b32_e32 v9, 7, v7
	v_lshrrev_b32_e32 v7, 2, v7
	v_cmp_lt_i32_e32 vcc_lo, 5, v9
	v_cmp_eq_u32_e64 s0, 3, v9
	s_or_b32 vcc_lo, s0, vcc_lo
	s_mul_i32 s0, s5, 0xe10
	v_add_co_ci_u32_e32 v7, vcc_lo, 0, v7, vcc_lo
	v_cmp_gt_i32_e32 vcc_lo, 31, v8
	s_add_i32 s1, s1, s0
	v_cndmask_b32_e32 v7, 0x7c00, v7, vcc_lo
	v_cmp_ne_u32_e32 vcc_lo, 0, v0
	v_cndmask_b32_e64 v0, 0, 1, vcc_lo
	v_cmp_eq_u32_e32 vcc_lo, 0x40f, v8
	v_lshl_or_b32 v0, v0, 9, 0x7c00
	v_cndmask_b32_e32 v0, v7, v0, vcc_lo
	v_add_co_u32 v4, vcc_lo, v4, s6
	v_add_co_ci_u32_e32 v5, vcc_lo, s1, v5, vcc_lo
	v_and_or_b32 v0, 0x8000, v1, v0
	v_and_b32_e32 v1, 0xffff, v6
	v_lshl_or_b32 v0, v0, 16, v1
	global_store_dword v[4:5], v0, off
	ds_read2_b32 v[0:1], v153 offset0:8 offset1:98
	s_waitcnt lgkmcnt(0)
	v_lshrrev_b32_e32 v8, 16, v0
	v_mul_f16_sdwa v6, v151, v8 dst_sel:DWORD dst_unused:UNUSED_PAD src0_sel:WORD_1 src1_sel:DWORD
	v_fmac_f16_e32 v6, v151, v0
	v_mul_f16_sdwa v0, v151, v0 dst_sel:DWORD dst_unused:UNUSED_PAD src0_sel:WORD_1 src1_sel:DWORD
	v_cvt_f32_f16_e32 v6, v6
	v_fma_f16 v0, v151, v8, -v0
	v_cvt_f64_f32_e32 v[6:7], v6
	v_cvt_f32_f16_e32 v0, v0
	v_mul_f64 v[6:7], v[6:7], s[2:3]
	v_and_or_b32 v6, 0x1ff, v7, v6
	v_lshrrev_b32_e32 v9, 8, v7
	v_bfe_u32 v10, v7, 20, 11
	v_lshrrev_b32_e32 v7, 16, v7
	v_cmp_ne_u32_e32 vcc_lo, 0, v6
	v_sub_nc_u32_e32 v11, 0x3f1, v10
	v_add_nc_u32_e32 v10, 0xfffffc10, v10
	v_cndmask_b32_e64 v6, 0, 1, vcc_lo
	v_med3_i32 v11, v11, 0, 13
	v_and_or_b32 v6, 0xffe, v9, v6
	v_or_b32_e32 v9, 0x1000, v6
	v_lshrrev_b32_e32 v12, v11, v9
	v_lshlrev_b32_e32 v11, v11, v12
	v_cmp_ne_u32_e32 vcc_lo, v11, v9
	v_lshl_or_b32 v11, v10, 12, v6
	v_cndmask_b32_e64 v9, 0, 1, vcc_lo
	v_cmp_gt_i32_e32 vcc_lo, 1, v10
	v_or_b32_e32 v9, v12, v9
	v_cndmask_b32_e32 v9, v11, v9, vcc_lo
	v_and_b32_e32 v11, 7, v9
	v_lshrrev_b32_e32 v9, 2, v9
	v_cmp_lt_i32_e32 vcc_lo, 5, v11
	v_cmp_eq_u32_e64 s0, 3, v11
	s_or_b32 vcc_lo, s0, vcc_lo
	v_add_co_ci_u32_e32 v9, vcc_lo, 0, v9, vcc_lo
	v_cmp_gt_i32_e32 vcc_lo, 31, v10
	v_cndmask_b32_e32 v9, 0x7c00, v9, vcc_lo
	v_cmp_ne_u32_e32 vcc_lo, 0, v6
	v_cndmask_b32_e64 v6, 0, 1, vcc_lo
	v_cmp_eq_u32_e32 vcc_lo, 0x40f, v10
	v_lshl_or_b32 v6, v6, 9, 0x7c00
	v_cndmask_b32_e32 v6, v9, v6, vcc_lo
	v_and_or_b32 v9, 0x8000, v7, v6
	v_cvt_f64_f32_e32 v[6:7], v0
	v_mul_f64 v[6:7], v[6:7], s[2:3]
	v_and_or_b32 v0, 0x1ff, v7, v6
	v_lshrrev_b32_e32 v6, 8, v7
	v_bfe_u32 v8, v7, 20, 11
	v_cmp_ne_u32_e32 vcc_lo, 0, v0
	v_sub_nc_u32_e32 v10, 0x3f1, v8
	v_add_nc_u32_e32 v8, 0xfffffc10, v8
	v_cndmask_b32_e64 v0, 0, 1, vcc_lo
	v_med3_i32 v10, v10, 0, 13
	v_and_or_b32 v0, 0xffe, v6, v0
	v_or_b32_e32 v6, 0x1000, v0
	v_lshrrev_b32_e32 v11, v10, v6
	v_lshlrev_b32_e32 v10, v10, v11
	v_cmp_ne_u32_e32 vcc_lo, v10, v6
	v_lshl_or_b32 v10, v8, 12, v0
	v_cndmask_b32_e64 v6, 0, 1, vcc_lo
	v_cmp_gt_i32_e32 vcc_lo, 1, v8
	v_or_b32_e32 v6, v11, v6
	v_cndmask_b32_e32 v6, v10, v6, vcc_lo
	v_and_b32_e32 v10, 7, v6
	v_lshrrev_b32_e32 v6, 2, v6
	v_cmp_lt_i32_e32 vcc_lo, 5, v10
	v_cmp_eq_u32_e64 s0, 3, v10
	s_or_b32 vcc_lo, s0, vcc_lo
	v_add_co_ci_u32_e32 v6, vcc_lo, 0, v6, vcc_lo
	v_cmp_gt_i32_e32 vcc_lo, 31, v8
	v_cndmask_b32_e32 v6, 0x7c00, v6, vcc_lo
	v_cmp_ne_u32_e32 vcc_lo, 0, v0
	v_cndmask_b32_e64 v0, 0, 1, vcc_lo
	v_cmp_eq_u32_e32 vcc_lo, 0x40f, v8
	v_lshl_or_b32 v0, v0, 9, 0x7c00
	v_cndmask_b32_e32 v0, v6, v0, vcc_lo
	v_lshrrev_b32_e32 v6, 16, v7
	v_add_co_u32 v4, vcc_lo, v4, s6
	v_add_co_ci_u32_e32 v5, vcc_lo, s1, v5, vcc_lo
	v_and_or_b32 v0, 0x8000, v6, v0
	v_and_b32_e32 v6, 0xffff, v9
	v_lshl_or_b32 v0, v0, 16, v6
	global_store_dword v[4:5], v0, off
	v_lshrrev_b32_e32 v0, 16, v3
	v_mul_f16_sdwa v6, v150, v0 dst_sel:DWORD dst_unused:UNUSED_PAD src0_sel:WORD_1 src1_sel:DWORD
	v_fmac_f16_e32 v6, v150, v3
	v_mul_f16_sdwa v3, v150, v3 dst_sel:DWORD dst_unused:UNUSED_PAD src0_sel:WORD_1 src1_sel:DWORD
	v_cvt_f32_f16_e32 v6, v6
	v_fma_f16 v0, v150, v0, -v3
	v_cvt_f64_f32_e32 v[6:7], v6
	v_cvt_f32_f16_e32 v0, v0
	v_mul_f64 v[6:7], v[6:7], s[2:3]
	v_and_or_b32 v6, 0x1ff, v7, v6
	v_lshrrev_b32_e32 v8, 8, v7
	v_bfe_u32 v9, v7, 20, 11
	v_lshrrev_b32_e32 v7, 16, v7
	v_cmp_ne_u32_e32 vcc_lo, 0, v6
	v_sub_nc_u32_e32 v10, 0x3f1, v9
	v_add_nc_u32_e32 v9, 0xfffffc10, v9
	v_cndmask_b32_e64 v6, 0, 1, vcc_lo
	v_med3_i32 v10, v10, 0, 13
	v_and_or_b32 v6, 0xffe, v8, v6
	v_or_b32_e32 v8, 0x1000, v6
	v_lshrrev_b32_e32 v11, v10, v8
	v_lshlrev_b32_e32 v10, v10, v11
	v_cmp_ne_u32_e32 vcc_lo, v10, v8
	v_lshl_or_b32 v10, v9, 12, v6
	v_cndmask_b32_e64 v8, 0, 1, vcc_lo
	v_cmp_gt_i32_e32 vcc_lo, 1, v9
	v_or_b32_e32 v8, v11, v8
	v_cndmask_b32_e32 v8, v10, v8, vcc_lo
	v_and_b32_e32 v10, 7, v8
	v_lshrrev_b32_e32 v8, 2, v8
	v_cmp_lt_i32_e32 vcc_lo, 5, v10
	v_cmp_eq_u32_e64 s0, 3, v10
	s_or_b32 vcc_lo, s0, vcc_lo
	v_add_co_ci_u32_e32 v8, vcc_lo, 0, v8, vcc_lo
	v_cmp_gt_i32_e32 vcc_lo, 31, v9
	v_cndmask_b32_e32 v8, 0x7c00, v8, vcc_lo
	v_cmp_ne_u32_e32 vcc_lo, 0, v6
	v_cndmask_b32_e64 v6, 0, 1, vcc_lo
	v_cmp_eq_u32_e32 vcc_lo, 0x40f, v9
	v_lshl_or_b32 v6, v6, 9, 0x7c00
	v_cndmask_b32_e32 v6, v8, v6, vcc_lo
	v_and_or_b32 v8, 0x8000, v7, v6
	v_cvt_f64_f32_e32 v[6:7], v0
	v_mul_f64 v[6:7], v[6:7], s[2:3]
	v_and_or_b32 v0, 0x1ff, v7, v6
	v_lshrrev_b32_e32 v3, 8, v7
	v_bfe_u32 v6, v7, 20, 11
	v_cmp_ne_u32_e32 vcc_lo, 0, v0
	v_sub_nc_u32_e32 v9, 0x3f1, v6
	v_add_nc_u32_e32 v6, 0xfffffc10, v6
	v_cndmask_b32_e64 v0, 0, 1, vcc_lo
	v_med3_i32 v9, v9, 0, 13
	v_and_or_b32 v0, 0xffe, v3, v0
	v_or_b32_e32 v3, 0x1000, v0
	v_lshrrev_b32_e32 v10, v9, v3
	v_lshlrev_b32_e32 v9, v9, v10
	v_cmp_ne_u32_e32 vcc_lo, v9, v3
	v_lshl_or_b32 v9, v6, 12, v0
	v_cndmask_b32_e64 v3, 0, 1, vcc_lo
	v_cmp_gt_i32_e32 vcc_lo, 1, v6
	v_or_b32_e32 v3, v10, v3
	v_cndmask_b32_e32 v3, v9, v3, vcc_lo
	v_and_b32_e32 v9, 7, v3
	v_lshrrev_b32_e32 v3, 2, v3
	v_cmp_lt_i32_e32 vcc_lo, 5, v9
	v_cmp_eq_u32_e64 s0, 3, v9
	s_or_b32 vcc_lo, s0, vcc_lo
	s_mul_i32 s0, s5, 0xffffe548
	v_add_co_ci_u32_e32 v3, vcc_lo, 0, v3, vcc_lo
	v_cmp_gt_i32_e32 vcc_lo, 31, v6
	s_mul_hi_u32 s5, s4, 0xffffe548
	s_sub_i32 s5, s5, s4
	s_mulk_i32 s4, 0xe548
	v_cndmask_b32_e32 v3, 0x7c00, v3, vcc_lo
	v_cmp_ne_u32_e32 vcc_lo, 0, v0
	s_add_i32 s5, s5, s0
	v_cndmask_b32_e64 v0, 0, 1, vcc_lo
	v_cmp_eq_u32_e32 vcc_lo, 0x40f, v6
	v_lshl_or_b32 v0, v0, 9, 0x7c00
	v_cndmask_b32_e32 v0, v3, v0, vcc_lo
	v_lshrrev_b32_e32 v3, 16, v7
	v_and_or_b32 v0, 0x8000, v3, v0
	v_and_b32_e32 v3, 0xffff, v8
	v_lshl_or_b32 v0, v0, 16, v3
	v_add_co_u32 v3, vcc_lo, v4, s4
	v_add_co_ci_u32_e32 v4, vcc_lo, s5, v5, vcc_lo
	global_store_dword v[3:4], v0, off
	v_lshrrev_b32_e32 v0, 16, v2
	v_mul_f16_sdwa v5, v148, v0 dst_sel:DWORD dst_unused:UNUSED_PAD src0_sel:WORD_1 src1_sel:DWORD
	v_fmac_f16_e32 v5, v148, v2
	v_mul_f16_sdwa v2, v148, v2 dst_sel:DWORD dst_unused:UNUSED_PAD src0_sel:WORD_1 src1_sel:DWORD
	v_cvt_f32_f16_e32 v5, v5
	v_fma_f16 v0, v148, v0, -v2
	v_cvt_f64_f32_e32 v[5:6], v5
	v_cvt_f32_f16_e32 v0, v0
	v_mul_f64 v[5:6], v[5:6], s[2:3]
	v_and_or_b32 v5, 0x1ff, v6, v5
	v_lshrrev_b32_e32 v7, 8, v6
	v_bfe_u32 v8, v6, 20, 11
	v_lshrrev_b32_e32 v6, 16, v6
	v_cmp_ne_u32_e32 vcc_lo, 0, v5
	v_sub_nc_u32_e32 v9, 0x3f1, v8
	v_add_nc_u32_e32 v8, 0xfffffc10, v8
	v_cndmask_b32_e64 v5, 0, 1, vcc_lo
	v_med3_i32 v9, v9, 0, 13
	v_and_or_b32 v5, 0xffe, v7, v5
	v_or_b32_e32 v7, 0x1000, v5
	v_lshrrev_b32_e32 v10, v9, v7
	v_lshlrev_b32_e32 v9, v9, v10
	v_cmp_ne_u32_e32 vcc_lo, v9, v7
	v_lshl_or_b32 v9, v8, 12, v5
	v_cndmask_b32_e64 v7, 0, 1, vcc_lo
	v_cmp_gt_i32_e32 vcc_lo, 1, v8
	v_or_b32_e32 v7, v10, v7
	v_cndmask_b32_e32 v7, v9, v7, vcc_lo
	v_and_b32_e32 v9, 7, v7
	v_lshrrev_b32_e32 v7, 2, v7
	v_cmp_lt_i32_e32 vcc_lo, 5, v9
	v_cmp_eq_u32_e64 s0, 3, v9
	s_or_b32 vcc_lo, s0, vcc_lo
	v_add_co_ci_u32_e32 v7, vcc_lo, 0, v7, vcc_lo
	v_cmp_gt_i32_e32 vcc_lo, 31, v8
	v_cndmask_b32_e32 v7, 0x7c00, v7, vcc_lo
	v_cmp_ne_u32_e32 vcc_lo, 0, v5
	v_cndmask_b32_e64 v5, 0, 1, vcc_lo
	v_cmp_eq_u32_e32 vcc_lo, 0x40f, v8
	v_lshl_or_b32 v5, v5, 9, 0x7c00
	v_cndmask_b32_e32 v5, v7, v5, vcc_lo
	v_and_or_b32 v7, 0x8000, v6, v5
	v_cvt_f64_f32_e32 v[5:6], v0
	v_mul_f64 v[5:6], v[5:6], s[2:3]
	v_and_or_b32 v0, 0x1ff, v6, v5
	v_lshrrev_b32_e32 v2, 8, v6
	v_bfe_u32 v5, v6, 20, 11
	v_cmp_ne_u32_e32 vcc_lo, 0, v0
	v_sub_nc_u32_e32 v8, 0x3f1, v5
	v_add_nc_u32_e32 v5, 0xfffffc10, v5
	v_cndmask_b32_e64 v0, 0, 1, vcc_lo
	v_med3_i32 v8, v8, 0, 13
	v_and_or_b32 v0, 0xffe, v2, v0
	v_or_b32_e32 v2, 0x1000, v0
	v_lshrrev_b32_e32 v9, v8, v2
	v_lshlrev_b32_e32 v8, v8, v9
	v_cmp_ne_u32_e32 vcc_lo, v8, v2
	v_lshl_or_b32 v8, v5, 12, v0
	v_cndmask_b32_e64 v2, 0, 1, vcc_lo
	v_cmp_gt_i32_e32 vcc_lo, 1, v5
	v_or_b32_e32 v2, v9, v2
	v_cndmask_b32_e32 v2, v8, v2, vcc_lo
	v_and_b32_e32 v8, 7, v2
	v_lshrrev_b32_e32 v2, 2, v2
	v_cmp_lt_i32_e32 vcc_lo, 5, v8
	v_cmp_eq_u32_e64 s0, 3, v8
	s_or_b32 vcc_lo, s0, vcc_lo
	v_add_co_ci_u32_e32 v2, vcc_lo, 0, v2, vcc_lo
	v_cmp_gt_i32_e32 vcc_lo, 31, v5
	v_cndmask_b32_e32 v2, 0x7c00, v2, vcc_lo
	v_cmp_ne_u32_e32 vcc_lo, 0, v0
	v_cndmask_b32_e64 v0, 0, 1, vcc_lo
	v_cmp_eq_u32_e32 vcc_lo, 0x40f, v5
	v_lshl_or_b32 v0, v0, 9, 0x7c00
	v_cndmask_b32_e32 v0, v2, v0, vcc_lo
	v_lshrrev_b32_e32 v2, 16, v6
	v_and_or_b32 v0, 0x8000, v2, v0
	v_and_b32_e32 v2, 0xffff, v7
	v_lshl_or_b32 v0, v0, 16, v2
	v_add_co_u32 v2, vcc_lo, v3, s6
	v_add_co_ci_u32_e32 v3, vcc_lo, s1, v4, vcc_lo
	global_store_dword v[2:3], v0, off
	v_lshrrev_b32_e32 v0, 16, v1
	v_mul_f16_sdwa v4, v146, v0 dst_sel:DWORD dst_unused:UNUSED_PAD src0_sel:WORD_1 src1_sel:DWORD
	v_fmac_f16_e32 v4, v146, v1
	v_mul_f16_sdwa v1, v146, v1 dst_sel:DWORD dst_unused:UNUSED_PAD src0_sel:WORD_1 src1_sel:DWORD
	v_cvt_f32_f16_e32 v4, v4
	v_fma_f16 v0, v146, v0, -v1
	v_cvt_f64_f32_e32 v[4:5], v4
	v_cvt_f32_f16_e32 v0, v0
	v_cvt_f64_f32_e32 v[0:1], v0
	v_mul_f64 v[4:5], v[4:5], s[2:3]
	v_mul_f64 v[0:1], v[0:1], s[2:3]
	v_and_or_b32 v4, 0x1ff, v5, v4
	v_lshrrev_b32_e32 v6, 8, v5
	v_bfe_u32 v7, v5, 20, 11
	v_lshrrev_b32_e32 v5, 16, v5
	v_cmp_ne_u32_e32 vcc_lo, 0, v4
	v_and_or_b32 v0, 0x1ff, v1, v0
	v_sub_nc_u32_e32 v8, 0x3f1, v7
	v_add_nc_u32_e32 v7, 0xfffffc10, v7
	v_cndmask_b32_e64 v4, 0, 1, vcc_lo
	v_med3_i32 v8, v8, 0, 13
	v_and_or_b32 v4, 0xffe, v6, v4
	v_or_b32_e32 v6, 0x1000, v4
	v_lshrrev_b32_e32 v9, v8, v6
	v_lshlrev_b32_e32 v8, v8, v9
	v_cmp_ne_u32_e32 vcc_lo, v8, v6
	v_lshl_or_b32 v8, v7, 12, v4
	v_cndmask_b32_e64 v6, 0, 1, vcc_lo
	v_cmp_gt_i32_e32 vcc_lo, 1, v7
	v_or_b32_e32 v6, v9, v6
	v_cndmask_b32_e32 v6, v8, v6, vcc_lo
	v_and_b32_e32 v8, 7, v6
	v_lshrrev_b32_e32 v6, 2, v6
	v_cmp_lt_i32_e32 vcc_lo, 5, v8
	v_cmp_eq_u32_e64 s0, 3, v8
	s_or_b32 vcc_lo, s0, vcc_lo
	v_add_co_ci_u32_e32 v6, vcc_lo, 0, v6, vcc_lo
	v_cmp_gt_i32_e32 vcc_lo, 31, v7
	v_cndmask_b32_e32 v6, 0x7c00, v6, vcc_lo
	v_cmp_ne_u32_e32 vcc_lo, 0, v4
	v_cndmask_b32_e64 v4, 0, 1, vcc_lo
	v_cmp_eq_u32_e32 vcc_lo, 0x40f, v7
	v_lshl_or_b32 v4, v4, 9, 0x7c00
	v_cndmask_b32_e32 v4, v6, v4, vcc_lo
	v_cmp_ne_u32_e32 vcc_lo, 0, v0
	v_bfe_u32 v6, v1, 20, 11
	v_and_or_b32 v4, 0x8000, v5, v4
	v_cndmask_b32_e64 v0, 0, 1, vcc_lo
	v_lshrrev_b32_e32 v5, 8, v1
	v_sub_nc_u32_e32 v7, 0x3f1, v6
	v_add_nc_u32_e32 v6, 0xfffffc10, v6
	v_lshrrev_b32_e32 v1, 16, v1
	v_and_or_b32 v0, 0xffe, v5, v0
	v_med3_i32 v7, v7, 0, 13
	v_or_b32_e32 v5, 0x1000, v0
	v_lshrrev_b32_e32 v8, v7, v5
	v_lshlrev_b32_e32 v7, v7, v8
	v_cmp_ne_u32_e32 vcc_lo, v7, v5
	v_lshl_or_b32 v7, v6, 12, v0
	v_cndmask_b32_e64 v5, 0, 1, vcc_lo
	v_cmp_gt_i32_e32 vcc_lo, 1, v6
	v_or_b32_e32 v5, v8, v5
	v_cndmask_b32_e32 v5, v7, v5, vcc_lo
	v_and_b32_e32 v7, 7, v5
	v_lshrrev_b32_e32 v5, 2, v5
	v_cmp_lt_i32_e32 vcc_lo, 5, v7
	v_cmp_eq_u32_e64 s0, 3, v7
	s_or_b32 vcc_lo, s0, vcc_lo
	v_add_co_ci_u32_e32 v5, vcc_lo, 0, v5, vcc_lo
	v_cmp_gt_i32_e32 vcc_lo, 31, v6
	v_cndmask_b32_e32 v5, 0x7c00, v5, vcc_lo
	v_cmp_ne_u32_e32 vcc_lo, 0, v0
	v_cndmask_b32_e64 v0, 0, 1, vcc_lo
	v_cmp_eq_u32_e32 vcc_lo, 0x40f, v6
	v_lshl_or_b32 v0, v0, 9, 0x7c00
	v_cndmask_b32_e32 v0, v5, v0, vcc_lo
	v_add_co_u32 v2, vcc_lo, v2, s6
	v_add_co_ci_u32_e32 v3, vcc_lo, s1, v3, vcc_lo
	v_and_or_b32 v0, 0x8000, v1, v0
	v_and_b32_e32 v1, 0xffff, v4
	v_lshl_or_b32 v0, v0, 16, v1
	global_store_dword v[2:3], v0, off
	ds_read2_b32 v[0:1], v147 offset0:52 offset1:142
	s_waitcnt lgkmcnt(0)
	v_lshrrev_b32_e32 v6, 16, v0
	v_mul_f16_sdwa v4, v144, v6 dst_sel:DWORD dst_unused:UNUSED_PAD src0_sel:WORD_1 src1_sel:DWORD
	v_fmac_f16_e32 v4, v144, v0
	v_mul_f16_sdwa v0, v144, v0 dst_sel:DWORD dst_unused:UNUSED_PAD src0_sel:WORD_1 src1_sel:DWORD
	v_cvt_f32_f16_e32 v4, v4
	v_fma_f16 v0, v144, v6, -v0
	v_cvt_f64_f32_e32 v[4:5], v4
	v_cvt_f32_f16_e32 v0, v0
	v_mul_f64 v[4:5], v[4:5], s[2:3]
	v_and_or_b32 v4, 0x1ff, v5, v4
	v_lshrrev_b32_e32 v7, 8, v5
	v_bfe_u32 v8, v5, 20, 11
	v_lshrrev_b32_e32 v5, 16, v5
	v_cmp_ne_u32_e32 vcc_lo, 0, v4
	v_sub_nc_u32_e32 v9, 0x3f1, v8
	v_add_nc_u32_e32 v8, 0xfffffc10, v8
	v_cndmask_b32_e64 v4, 0, 1, vcc_lo
	v_med3_i32 v9, v9, 0, 13
	v_and_or_b32 v4, 0xffe, v7, v4
	v_or_b32_e32 v7, 0x1000, v4
	v_lshrrev_b32_e32 v10, v9, v7
	v_lshlrev_b32_e32 v9, v9, v10
	v_cmp_ne_u32_e32 vcc_lo, v9, v7
	v_lshl_or_b32 v9, v8, 12, v4
	v_cndmask_b32_e64 v7, 0, 1, vcc_lo
	v_cmp_gt_i32_e32 vcc_lo, 1, v8
	v_or_b32_e32 v7, v10, v7
	v_cndmask_b32_e32 v7, v9, v7, vcc_lo
	v_and_b32_e32 v9, 7, v7
	v_lshrrev_b32_e32 v7, 2, v7
	v_cmp_lt_i32_e32 vcc_lo, 5, v9
	v_cmp_eq_u32_e64 s0, 3, v9
	s_or_b32 vcc_lo, s0, vcc_lo
	v_add_co_ci_u32_e32 v7, vcc_lo, 0, v7, vcc_lo
	v_cmp_gt_i32_e32 vcc_lo, 31, v8
	v_cndmask_b32_e32 v7, 0x7c00, v7, vcc_lo
	v_cmp_ne_u32_e32 vcc_lo, 0, v4
	v_cndmask_b32_e64 v4, 0, 1, vcc_lo
	v_cmp_eq_u32_e32 vcc_lo, 0x40f, v8
	v_lshl_or_b32 v4, v4, 9, 0x7c00
	v_cndmask_b32_e32 v4, v7, v4, vcc_lo
	v_and_or_b32 v7, 0x8000, v5, v4
	v_cvt_f64_f32_e32 v[4:5], v0
	v_mul_f64 v[4:5], v[4:5], s[2:3]
	v_and_or_b32 v0, 0x1ff, v5, v4
	v_lshrrev_b32_e32 v4, 8, v5
	v_bfe_u32 v6, v5, 20, 11
	v_cmp_ne_u32_e32 vcc_lo, 0, v0
	v_sub_nc_u32_e32 v8, 0x3f1, v6
	v_add_nc_u32_e32 v6, 0xfffffc10, v6
	v_cndmask_b32_e64 v0, 0, 1, vcc_lo
	v_med3_i32 v8, v8, 0, 13
	v_and_or_b32 v0, 0xffe, v4, v0
	v_or_b32_e32 v4, 0x1000, v0
	v_lshrrev_b32_e32 v9, v8, v4
	v_lshlrev_b32_e32 v8, v8, v9
	v_cmp_ne_u32_e32 vcc_lo, v8, v4
	v_lshl_or_b32 v8, v6, 12, v0
	v_cndmask_b32_e64 v4, 0, 1, vcc_lo
	v_cmp_gt_i32_e32 vcc_lo, 1, v6
	v_or_b32_e32 v4, v9, v4
	v_cndmask_b32_e32 v4, v8, v4, vcc_lo
	v_and_b32_e32 v8, 7, v4
	v_lshrrev_b32_e32 v4, 2, v4
	v_cmp_lt_i32_e32 vcc_lo, 5, v8
	v_cmp_eq_u32_e64 s0, 3, v8
	s_or_b32 vcc_lo, s0, vcc_lo
	v_add_co_ci_u32_e32 v4, vcc_lo, 0, v4, vcc_lo
	v_cmp_gt_i32_e32 vcc_lo, 31, v6
	v_cndmask_b32_e32 v4, 0x7c00, v4, vcc_lo
	v_cmp_ne_u32_e32 vcc_lo, 0, v0
	v_cndmask_b32_e64 v0, 0, 1, vcc_lo
	v_cmp_eq_u32_e32 vcc_lo, 0x40f, v6
	v_lshl_or_b32 v0, v0, 9, 0x7c00
	v_cndmask_b32_e32 v0, v4, v0, vcc_lo
	v_lshrrev_b32_e32 v4, 16, v5
	v_add_co_u32 v5, vcc_lo, v2, s4
	v_add_co_ci_u32_e32 v6, vcc_lo, s5, v3, vcc_lo
	v_and_or_b32 v0, 0x8000, v4, v0
	v_and_b32_e32 v4, 0xffff, v7
	v_lshl_or_b32 v0, v0, 16, v4
	ds_read2_b32 v[3:4], v145 offset0:56 offset1:146
	global_store_dword v[5:6], v0, off
	s_waitcnt lgkmcnt(0)
	v_lshrrev_b32_e32 v0, 16, v3
	v_mul_f16_sdwa v2, v143, v0 dst_sel:DWORD dst_unused:UNUSED_PAD src0_sel:WORD_1 src1_sel:DWORD
	v_fmac_f16_e32 v2, v143, v3
	v_cvt_f32_f16_e32 v2, v2
	v_cvt_f64_f32_e32 v[7:8], v2
	v_mul_f64 v[7:8], v[7:8], s[2:3]
	v_and_or_b32 v2, 0x1ff, v8, v7
	v_lshrrev_b32_e32 v7, 8, v8
	v_bfe_u32 v9, v8, 20, 11
	v_cmp_ne_u32_e32 vcc_lo, 0, v2
	v_sub_nc_u32_e32 v10, 0x3f1, v9
	v_add_nc_u32_e32 v9, 0xfffffc10, v9
	v_cndmask_b32_e64 v2, 0, 1, vcc_lo
	v_med3_i32 v10, v10, 0, 13
	v_and_or_b32 v2, 0xffe, v7, v2
	v_or_b32_e32 v7, 0x1000, v2
	v_lshrrev_b32_e32 v11, v10, v7
	v_lshlrev_b32_e32 v10, v10, v11
	v_cmp_ne_u32_e32 vcc_lo, v10, v7
	v_lshl_or_b32 v10, v9, 12, v2
	v_cndmask_b32_e64 v7, 0, 1, vcc_lo
	v_cmp_gt_i32_e32 vcc_lo, 1, v9
	v_or_b32_e32 v7, v11, v7
	v_cndmask_b32_e32 v7, v10, v7, vcc_lo
	v_and_b32_e32 v10, 7, v7
	v_lshrrev_b32_e32 v7, 2, v7
	v_cmp_lt_i32_e32 vcc_lo, 5, v10
	v_cmp_eq_u32_e64 s0, 3, v10
	s_or_b32 vcc_lo, s0, vcc_lo
	v_add_co_ci_u32_e32 v7, vcc_lo, 0, v7, vcc_lo
	v_cmp_gt_i32_e32 vcc_lo, 31, v9
	v_cndmask_b32_e32 v7, 0x7c00, v7, vcc_lo
	v_cmp_ne_u32_e32 vcc_lo, 0, v2
	v_cndmask_b32_e64 v2, 0, 1, vcc_lo
	v_cmp_eq_u32_e32 vcc_lo, 0x40f, v9
	v_lshl_or_b32 v2, v2, 9, 0x7c00
	v_cndmask_b32_e32 v2, v7, v2, vcc_lo
	v_lshrrev_b32_e32 v7, 16, v8
	v_and_or_b32 v7, 0x8000, v7, v2
	v_mul_f16_sdwa v2, v143, v3 dst_sel:DWORD dst_unused:UNUSED_PAD src0_sel:WORD_1 src1_sel:DWORD
	v_fma_f16 v0, v143, v0, -v2
	v_cvt_f32_f16_e32 v0, v0
	v_cvt_f64_f32_e32 v[2:3], v0
	v_mul_f64 v[2:3], v[2:3], s[2:3]
	v_and_or_b32 v0, 0x1ff, v3, v2
	v_lshrrev_b32_e32 v2, 8, v3
	v_bfe_u32 v8, v3, 20, 11
	v_cmp_ne_u32_e32 vcc_lo, 0, v0
	v_sub_nc_u32_e32 v9, 0x3f1, v8
	v_add_nc_u32_e32 v8, 0xfffffc10, v8
	v_cndmask_b32_e64 v0, 0, 1, vcc_lo
	v_med3_i32 v9, v9, 0, 13
	v_and_or_b32 v0, 0xffe, v2, v0
	v_or_b32_e32 v2, 0x1000, v0
	v_lshrrev_b32_e32 v10, v9, v2
	v_lshlrev_b32_e32 v9, v9, v10
	v_cmp_ne_u32_e32 vcc_lo, v9, v2
	v_lshl_or_b32 v9, v8, 12, v0
	v_cndmask_b32_e64 v2, 0, 1, vcc_lo
	v_cmp_gt_i32_e32 vcc_lo, 1, v8
	v_or_b32_e32 v2, v10, v2
	v_cndmask_b32_e32 v2, v9, v2, vcc_lo
	v_and_b32_e32 v9, 7, v2
	v_lshrrev_b32_e32 v2, 2, v2
	v_cmp_lt_i32_e32 vcc_lo, 5, v9
	v_cmp_eq_u32_e64 s0, 3, v9
	s_or_b32 vcc_lo, s0, vcc_lo
	v_add_co_ci_u32_e32 v2, vcc_lo, 0, v2, vcc_lo
	v_cmp_gt_i32_e32 vcc_lo, 31, v8
	v_cndmask_b32_e32 v2, 0x7c00, v2, vcc_lo
	v_cmp_ne_u32_e32 vcc_lo, 0, v0
	v_cndmask_b32_e64 v0, 0, 1, vcc_lo
	v_cmp_eq_u32_e32 vcc_lo, 0x40f, v8
	v_lshl_or_b32 v0, v0, 9, 0x7c00
	v_cndmask_b32_e32 v0, v2, v0, vcc_lo
	v_lshrrev_b32_e32 v2, 16, v3
	v_add_co_u32 v5, vcc_lo, v5, s6
	v_add_co_ci_u32_e32 v6, vcc_lo, s1, v6, vcc_lo
	v_and_or_b32 v0, 0x8000, v2, v0
	v_and_b32_e32 v2, 0xffff, v7
	v_lshl_or_b32 v0, v0, 16, v2
	ds_read2_b32 v[2:3], v149 offset0:60 offset1:150
	global_store_dword v[5:6], v0, off
	s_waitcnt lgkmcnt(0)
	v_lshrrev_b32_e32 v0, 16, v2
	v_mul_f16_sdwa v7, v142, v0 dst_sel:DWORD dst_unused:UNUSED_PAD src0_sel:WORD_1 src1_sel:DWORD
	v_fmac_f16_e32 v7, v142, v2
	v_mul_f16_sdwa v2, v142, v2 dst_sel:DWORD dst_unused:UNUSED_PAD src0_sel:WORD_1 src1_sel:DWORD
	v_cvt_f32_f16_e32 v7, v7
	v_fma_f16 v0, v142, v0, -v2
	v_cvt_f64_f32_e32 v[7:8], v7
	v_cvt_f32_f16_e32 v0, v0
	v_mul_f64 v[7:8], v[7:8], s[2:3]
	v_and_or_b32 v7, 0x1ff, v8, v7
	v_lshrrev_b32_e32 v9, 8, v8
	v_bfe_u32 v10, v8, 20, 11
	v_lshrrev_b32_e32 v8, 16, v8
	v_cmp_ne_u32_e32 vcc_lo, 0, v7
	v_sub_nc_u32_e32 v11, 0x3f1, v10
	v_add_nc_u32_e32 v10, 0xfffffc10, v10
	v_cndmask_b32_e64 v7, 0, 1, vcc_lo
	v_med3_i32 v11, v11, 0, 13
	v_and_or_b32 v7, 0xffe, v9, v7
	v_or_b32_e32 v9, 0x1000, v7
	v_lshrrev_b32_e32 v12, v11, v9
	v_lshlrev_b32_e32 v11, v11, v12
	v_cmp_ne_u32_e32 vcc_lo, v11, v9
	v_lshl_or_b32 v11, v10, 12, v7
	v_cndmask_b32_e64 v9, 0, 1, vcc_lo
	v_cmp_gt_i32_e32 vcc_lo, 1, v10
	v_or_b32_e32 v9, v12, v9
	v_cndmask_b32_e32 v9, v11, v9, vcc_lo
	v_and_b32_e32 v11, 7, v9
	v_lshrrev_b32_e32 v9, 2, v9
	v_cmp_lt_i32_e32 vcc_lo, 5, v11
	v_cmp_eq_u32_e64 s0, 3, v11
	s_or_b32 vcc_lo, s0, vcc_lo
	v_add_co_ci_u32_e32 v9, vcc_lo, 0, v9, vcc_lo
	v_cmp_gt_i32_e32 vcc_lo, 31, v10
	v_cndmask_b32_e32 v9, 0x7c00, v9, vcc_lo
	v_cmp_ne_u32_e32 vcc_lo, 0, v7
	v_cndmask_b32_e64 v7, 0, 1, vcc_lo
	v_cmp_eq_u32_e32 vcc_lo, 0x40f, v10
	v_lshl_or_b32 v7, v7, 9, 0x7c00
	v_cndmask_b32_e32 v7, v9, v7, vcc_lo
	v_and_or_b32 v9, 0x8000, v8, v7
	v_cvt_f64_f32_e32 v[7:8], v0
	v_mul_f64 v[7:8], v[7:8], s[2:3]
	v_and_or_b32 v0, 0x1ff, v8, v7
	v_lshrrev_b32_e32 v2, 8, v8
	v_bfe_u32 v7, v8, 20, 11
	v_cmp_ne_u32_e32 vcc_lo, 0, v0
	v_sub_nc_u32_e32 v10, 0x3f1, v7
	v_add_nc_u32_e32 v7, 0xfffffc10, v7
	v_cndmask_b32_e64 v0, 0, 1, vcc_lo
	v_med3_i32 v10, v10, 0, 13
	v_and_or_b32 v0, 0xffe, v2, v0
	v_or_b32_e32 v2, 0x1000, v0
	v_lshrrev_b32_e32 v11, v10, v2
	v_lshlrev_b32_e32 v10, v10, v11
	v_cmp_ne_u32_e32 vcc_lo, v10, v2
	v_lshl_or_b32 v10, v7, 12, v0
	v_cndmask_b32_e64 v2, 0, 1, vcc_lo
	v_cmp_gt_i32_e32 vcc_lo, 1, v7
	v_or_b32_e32 v2, v11, v2
	v_cndmask_b32_e32 v2, v10, v2, vcc_lo
	v_and_b32_e32 v10, 7, v2
	v_lshrrev_b32_e32 v2, 2, v2
	v_cmp_lt_i32_e32 vcc_lo, 5, v10
	v_cmp_eq_u32_e64 s0, 3, v10
	s_or_b32 vcc_lo, s0, vcc_lo
	v_add_co_ci_u32_e32 v2, vcc_lo, 0, v2, vcc_lo
	v_cmp_gt_i32_e32 vcc_lo, 31, v7
	v_cndmask_b32_e32 v2, 0x7c00, v2, vcc_lo
	v_cmp_ne_u32_e32 vcc_lo, 0, v0
	v_cndmask_b32_e64 v0, 0, 1, vcc_lo
	v_cmp_eq_u32_e32 vcc_lo, 0x40f, v7
	v_lshl_or_b32 v0, v0, 9, 0x7c00
	v_cndmask_b32_e32 v0, v2, v0, vcc_lo
	v_lshrrev_b32_e32 v2, 16, v8
	v_add_co_u32 v5, vcc_lo, v5, s6
	v_add_co_ci_u32_e32 v6, vcc_lo, s1, v6, vcc_lo
	v_and_or_b32 v0, 0x8000, v2, v0
	v_and_b32_e32 v2, 0xffff, v9
	v_lshl_or_b32 v0, v0, 16, v2
	global_store_dword v[5:6], v0, off
	v_lshrrev_b32_e32 v0, 16, v1
	v_mul_f16_sdwa v2, v141, v0 dst_sel:DWORD dst_unused:UNUSED_PAD src0_sel:WORD_1 src1_sel:DWORD
	v_fmac_f16_e32 v2, v141, v1
	v_mul_f16_sdwa v1, v141, v1 dst_sel:DWORD dst_unused:UNUSED_PAD src0_sel:WORD_1 src1_sel:DWORD
	v_cvt_f32_f16_e32 v2, v2
	v_fma_f16 v0, v141, v0, -v1
	v_cvt_f64_f32_e32 v[7:8], v2
	v_cvt_f32_f16_e32 v0, v0
	v_cvt_f64_f32_e32 v[0:1], v0
	v_mul_f64 v[7:8], v[7:8], s[2:3]
	v_mul_f64 v[0:1], v[0:1], s[2:3]
	v_and_or_b32 v2, 0x1ff, v8, v7
	v_lshrrev_b32_e32 v7, 8, v8
	v_bfe_u32 v9, v8, 20, 11
	v_cmp_ne_u32_e32 vcc_lo, 0, v2
	v_and_or_b32 v0, 0x1ff, v1, v0
	v_sub_nc_u32_e32 v10, 0x3f1, v9
	v_add_nc_u32_e32 v9, 0xfffffc10, v9
	v_cndmask_b32_e64 v2, 0, 1, vcc_lo
	v_med3_i32 v10, v10, 0, 13
	v_and_or_b32 v2, 0xffe, v7, v2
	v_or_b32_e32 v7, 0x1000, v2
	v_lshrrev_b32_e32 v11, v10, v7
	v_lshlrev_b32_e32 v10, v10, v11
	v_cmp_ne_u32_e32 vcc_lo, v10, v7
	v_lshl_or_b32 v10, v9, 12, v2
	v_cndmask_b32_e64 v7, 0, 1, vcc_lo
	v_cmp_gt_i32_e32 vcc_lo, 1, v9
	v_or_b32_e32 v7, v11, v7
	v_cndmask_b32_e32 v7, v10, v7, vcc_lo
	v_and_b32_e32 v10, 7, v7
	v_lshrrev_b32_e32 v7, 2, v7
	v_cmp_lt_i32_e32 vcc_lo, 5, v10
	v_cmp_eq_u32_e64 s0, 3, v10
	s_or_b32 vcc_lo, s0, vcc_lo
	v_add_co_ci_u32_e32 v7, vcc_lo, 0, v7, vcc_lo
	v_cmp_gt_i32_e32 vcc_lo, 31, v9
	v_cndmask_b32_e32 v7, 0x7c00, v7, vcc_lo
	v_cmp_ne_u32_e32 vcc_lo, 0, v2
	v_cndmask_b32_e64 v2, 0, 1, vcc_lo
	v_cmp_eq_u32_e32 vcc_lo, 0x40f, v9
	v_lshl_or_b32 v2, v2, 9, 0x7c00
	v_cndmask_b32_e32 v2, v7, v2, vcc_lo
	v_lshrrev_b32_e32 v7, 16, v8
	v_cmp_ne_u32_e32 vcc_lo, 0, v0
	v_bfe_u32 v8, v1, 20, 11
	v_and_or_b32 v2, 0x8000, v7, v2
	v_cndmask_b32_e64 v0, 0, 1, vcc_lo
	v_lshrrev_b32_e32 v7, 8, v1
	v_sub_nc_u32_e32 v9, 0x3f1, v8
	v_add_nc_u32_e32 v8, 0xfffffc10, v8
	v_lshrrev_b32_e32 v1, 16, v1
	v_and_or_b32 v0, 0xffe, v7, v0
	v_med3_i32 v9, v9, 0, 13
	v_or_b32_e32 v7, 0x1000, v0
	v_lshrrev_b32_e32 v10, v9, v7
	v_lshlrev_b32_e32 v9, v9, v10
	v_cmp_ne_u32_e32 vcc_lo, v9, v7
	v_lshl_or_b32 v9, v8, 12, v0
	v_cndmask_b32_e64 v7, 0, 1, vcc_lo
	v_cmp_gt_i32_e32 vcc_lo, 1, v8
	v_or_b32_e32 v7, v10, v7
	v_cndmask_b32_e32 v7, v9, v7, vcc_lo
	v_and_b32_e32 v9, 7, v7
	v_lshrrev_b32_e32 v7, 2, v7
	v_cmp_lt_i32_e32 vcc_lo, 5, v9
	v_cmp_eq_u32_e64 s0, 3, v9
	s_or_b32 vcc_lo, s0, vcc_lo
	v_add_co_ci_u32_e32 v7, vcc_lo, 0, v7, vcc_lo
	v_cmp_gt_i32_e32 vcc_lo, 31, v8
	v_cndmask_b32_e32 v7, 0x7c00, v7, vcc_lo
	v_cmp_ne_u32_e32 vcc_lo, 0, v0
	v_cndmask_b32_e64 v0, 0, 1, vcc_lo
	v_cmp_eq_u32_e32 vcc_lo, 0x40f, v8
	v_lshl_or_b32 v0, v0, 9, 0x7c00
	v_cndmask_b32_e32 v0, v7, v0, vcc_lo
	v_and_or_b32 v0, 0x8000, v1, v0
	v_and_b32_e32 v1, 0xffff, v2
	v_lshl_or_b32 v2, v0, 16, v1
	v_add_co_u32 v0, vcc_lo, v5, s4
	v_add_co_ci_u32_e32 v1, vcc_lo, s5, v6, vcc_lo
	global_store_dword v[0:1], v2, off
	v_lshrrev_b32_e32 v2, 16, v4
	v_mul_f16_sdwa v5, v139, v2 dst_sel:DWORD dst_unused:UNUSED_PAD src0_sel:WORD_1 src1_sel:DWORD
	v_fmac_f16_e32 v5, v139, v4
	v_mul_f16_sdwa v4, v139, v4 dst_sel:DWORD dst_unused:UNUSED_PAD src0_sel:WORD_1 src1_sel:DWORD
	v_cvt_f32_f16_e32 v5, v5
	v_fma_f16 v2, v139, v2, -v4
	v_cvt_f64_f32_e32 v[5:6], v5
	v_cvt_f32_f16_e32 v2, v2
	v_mul_f64 v[5:6], v[5:6], s[2:3]
	v_and_or_b32 v5, 0x1ff, v6, v5
	v_lshrrev_b32_e32 v7, 8, v6
	v_bfe_u32 v8, v6, 20, 11
	v_lshrrev_b32_e32 v6, 16, v6
	v_cmp_ne_u32_e32 vcc_lo, 0, v5
	v_sub_nc_u32_e32 v9, 0x3f1, v8
	v_add_nc_u32_e32 v8, 0xfffffc10, v8
	v_cndmask_b32_e64 v5, 0, 1, vcc_lo
	v_med3_i32 v9, v9, 0, 13
	v_and_or_b32 v5, 0xffe, v7, v5
	v_or_b32_e32 v7, 0x1000, v5
	v_lshrrev_b32_e32 v10, v9, v7
	v_lshlrev_b32_e32 v9, v9, v10
	v_cmp_ne_u32_e32 vcc_lo, v9, v7
	v_lshl_or_b32 v9, v8, 12, v5
	v_cndmask_b32_e64 v7, 0, 1, vcc_lo
	v_cmp_gt_i32_e32 vcc_lo, 1, v8
	v_or_b32_e32 v7, v10, v7
	v_cndmask_b32_e32 v7, v9, v7, vcc_lo
	v_and_b32_e32 v9, 7, v7
	v_lshrrev_b32_e32 v7, 2, v7
	v_cmp_lt_i32_e32 vcc_lo, 5, v9
	v_cmp_eq_u32_e64 s0, 3, v9
	s_or_b32 vcc_lo, s0, vcc_lo
	v_add_co_ci_u32_e32 v7, vcc_lo, 0, v7, vcc_lo
	v_cmp_gt_i32_e32 vcc_lo, 31, v8
	v_cndmask_b32_e32 v7, 0x7c00, v7, vcc_lo
	v_cmp_ne_u32_e32 vcc_lo, 0, v5
	v_cndmask_b32_e64 v5, 0, 1, vcc_lo
	v_cmp_eq_u32_e32 vcc_lo, 0x40f, v8
	v_lshl_or_b32 v5, v5, 9, 0x7c00
	v_cndmask_b32_e32 v5, v7, v5, vcc_lo
	v_and_or_b32 v6, 0x8000, v6, v5
	v_cvt_f64_f32_e32 v[4:5], v2
	v_mul_f64 v[4:5], v[4:5], s[2:3]
	v_and_or_b32 v2, 0x1ff, v5, v4
	v_lshrrev_b32_e32 v4, 8, v5
	v_bfe_u32 v7, v5, 20, 11
	v_cmp_ne_u32_e32 vcc_lo, 0, v2
	v_sub_nc_u32_e32 v8, 0x3f1, v7
	v_add_nc_u32_e32 v7, 0xfffffc10, v7
	v_cndmask_b32_e64 v2, 0, 1, vcc_lo
	v_med3_i32 v8, v8, 0, 13
	v_and_or_b32 v2, 0xffe, v4, v2
	v_or_b32_e32 v4, 0x1000, v2
	v_lshrrev_b32_e32 v9, v8, v4
	v_lshlrev_b32_e32 v8, v8, v9
	v_cmp_ne_u32_e32 vcc_lo, v8, v4
	v_lshl_or_b32 v8, v7, 12, v2
	v_cndmask_b32_e64 v4, 0, 1, vcc_lo
	v_cmp_gt_i32_e32 vcc_lo, 1, v7
	v_or_b32_e32 v4, v9, v4
	v_cndmask_b32_e32 v4, v8, v4, vcc_lo
	v_and_b32_e32 v8, 7, v4
	v_lshrrev_b32_e32 v4, 2, v4
	v_cmp_lt_i32_e32 vcc_lo, 5, v8
	v_cmp_eq_u32_e64 s0, 3, v8
	s_or_b32 vcc_lo, s0, vcc_lo
	v_add_co_ci_u32_e32 v4, vcc_lo, 0, v4, vcc_lo
	v_cmp_gt_i32_e32 vcc_lo, 31, v7
	v_cndmask_b32_e32 v4, 0x7c00, v4, vcc_lo
	v_cmp_ne_u32_e32 vcc_lo, 0, v2
	v_cndmask_b32_e64 v2, 0, 1, vcc_lo
	v_cmp_eq_u32_e32 vcc_lo, 0x40f, v7
	v_lshl_or_b32 v2, v2, 9, 0x7c00
	v_cndmask_b32_e32 v2, v4, v2, vcc_lo
	v_lshrrev_b32_e32 v4, 16, v5
	v_add_co_u32 v0, vcc_lo, v0, s6
	v_add_co_ci_u32_e32 v1, vcc_lo, s1, v1, vcc_lo
	v_and_or_b32 v2, 0x8000, v4, v2
	v_and_b32_e32 v4, 0xffff, v6
	v_lshl_or_b32 v2, v2, 16, v4
	global_store_dword v[0:1], v2, off
	v_lshrrev_b32_e32 v2, 16, v3
	v_mul_f16_sdwa v4, v138, v2 dst_sel:DWORD dst_unused:UNUSED_PAD src0_sel:WORD_1 src1_sel:DWORD
	v_fmac_f16_e32 v4, v138, v3
	v_mul_f16_sdwa v3, v138, v3 dst_sel:DWORD dst_unused:UNUSED_PAD src0_sel:WORD_1 src1_sel:DWORD
	v_cvt_f32_f16_e32 v4, v4
	v_fma_f16 v2, v138, v2, -v3
	v_cvt_f64_f32_e32 v[4:5], v4
	v_cvt_f32_f16_e32 v2, v2
	v_cvt_f64_f32_e32 v[2:3], v2
	v_mul_f64 v[4:5], v[4:5], s[2:3]
	v_mul_f64 v[2:3], v[2:3], s[2:3]
	v_and_or_b32 v4, 0x1ff, v5, v4
	v_lshrrev_b32_e32 v6, 8, v5
	v_bfe_u32 v7, v5, 20, 11
	v_lshrrev_b32_e32 v5, 16, v5
	v_cmp_ne_u32_e32 vcc_lo, 0, v4
	v_and_or_b32 v2, 0x1ff, v3, v2
	v_sub_nc_u32_e32 v8, 0x3f1, v7
	v_add_nc_u32_e32 v7, 0xfffffc10, v7
	v_cndmask_b32_e64 v4, 0, 1, vcc_lo
	v_med3_i32 v8, v8, 0, 13
	v_and_or_b32 v4, 0xffe, v6, v4
	v_or_b32_e32 v6, 0x1000, v4
	v_lshrrev_b32_e32 v9, v8, v6
	v_lshlrev_b32_e32 v8, v8, v9
	v_cmp_ne_u32_e32 vcc_lo, v8, v6
	v_lshl_or_b32 v8, v7, 12, v4
	v_cndmask_b32_e64 v6, 0, 1, vcc_lo
	v_cmp_gt_i32_e32 vcc_lo, 1, v7
	v_or_b32_e32 v6, v9, v6
	v_cndmask_b32_e32 v6, v8, v6, vcc_lo
	v_and_b32_e32 v8, 7, v6
	v_lshrrev_b32_e32 v6, 2, v6
	v_cmp_lt_i32_e32 vcc_lo, 5, v8
	v_cmp_eq_u32_e64 s0, 3, v8
	s_or_b32 vcc_lo, s0, vcc_lo
	v_add_co_ci_u32_e32 v6, vcc_lo, 0, v6, vcc_lo
	v_cmp_gt_i32_e32 vcc_lo, 31, v7
	v_cndmask_b32_e32 v6, 0x7c00, v6, vcc_lo
	v_cmp_ne_u32_e32 vcc_lo, 0, v4
	v_cndmask_b32_e64 v4, 0, 1, vcc_lo
	v_cmp_eq_u32_e32 vcc_lo, 0x40f, v7
	v_lshl_or_b32 v4, v4, 9, 0x7c00
	v_cndmask_b32_e32 v4, v6, v4, vcc_lo
	v_cmp_ne_u32_e32 vcc_lo, 0, v2
	v_bfe_u32 v6, v3, 20, 11
	v_and_or_b32 v4, 0x8000, v5, v4
	v_cndmask_b32_e64 v2, 0, 1, vcc_lo
	v_lshrrev_b32_e32 v5, 8, v3
	v_sub_nc_u32_e32 v7, 0x3f1, v6
	v_add_nc_u32_e32 v6, 0xfffffc10, v6
	v_lshrrev_b32_e32 v3, 16, v3
	v_and_or_b32 v2, 0xffe, v5, v2
	v_med3_i32 v7, v7, 0, 13
	v_or_b32_e32 v5, 0x1000, v2
	v_lshrrev_b32_e32 v8, v7, v5
	v_lshlrev_b32_e32 v7, v7, v8
	v_cmp_ne_u32_e32 vcc_lo, v7, v5
	v_lshl_or_b32 v7, v6, 12, v2
	v_cndmask_b32_e64 v5, 0, 1, vcc_lo
	v_cmp_gt_i32_e32 vcc_lo, 1, v6
	v_or_b32_e32 v5, v8, v5
	v_cndmask_b32_e32 v5, v7, v5, vcc_lo
	v_and_b32_e32 v7, 7, v5
	v_lshrrev_b32_e32 v5, 2, v5
	v_cmp_lt_i32_e32 vcc_lo, 5, v7
	v_cmp_eq_u32_e64 s0, 3, v7
	s_or_b32 vcc_lo, s0, vcc_lo
	v_add_co_ci_u32_e32 v5, vcc_lo, 0, v5, vcc_lo
	v_cmp_gt_i32_e32 vcc_lo, 31, v6
	v_cndmask_b32_e32 v5, 0x7c00, v5, vcc_lo
	v_cmp_ne_u32_e32 vcc_lo, 0, v2
	v_cndmask_b32_e64 v2, 0, 1, vcc_lo
	v_cmp_eq_u32_e32 vcc_lo, 0x40f, v6
	v_lshl_or_b32 v2, v2, 9, 0x7c00
	v_cndmask_b32_e32 v2, v5, v2, vcc_lo
	v_and_or_b32 v2, 0x8000, v3, v2
	v_and_b32_e32 v3, 0xffff, v4
	v_lshl_or_b32 v2, v2, 16, v3
	v_add_co_u32 v3, vcc_lo, v0, s6
	v_add_co_ci_u32_e32 v4, vcc_lo, s1, v1, vcc_lo
	global_store_dword v[3:4], v2, off
	ds_read2_b32 v[1:2], v137 offset0:104 offset1:194
	s_waitcnt lgkmcnt(0)
	v_lshrrev_b32_e32 v0, 16, v1
	v_mul_f16_sdwa v5, v136, v0 dst_sel:DWORD dst_unused:UNUSED_PAD src0_sel:WORD_1 src1_sel:DWORD
	v_fmac_f16_e32 v5, v136, v1
	v_mul_f16_sdwa v1, v136, v1 dst_sel:DWORD dst_unused:UNUSED_PAD src0_sel:WORD_1 src1_sel:DWORD
	v_cvt_f32_f16_e32 v5, v5
	v_fma_f16 v0, v136, v0, -v1
	v_cvt_f64_f32_e32 v[5:6], v5
	v_cvt_f32_f16_e32 v0, v0
	v_cvt_f64_f32_e32 v[0:1], v0
	v_mul_f64 v[5:6], v[5:6], s[2:3]
	v_mul_f64 v[0:1], v[0:1], s[2:3]
	v_and_or_b32 v5, 0x1ff, v6, v5
	v_lshrrev_b32_e32 v7, 8, v6
	v_bfe_u32 v8, v6, 20, 11
	v_lshrrev_b32_e32 v6, 16, v6
	v_cmp_ne_u32_e32 vcc_lo, 0, v5
	v_and_or_b32 v0, 0x1ff, v1, v0
	v_sub_nc_u32_e32 v9, 0x3f1, v8
	v_add_nc_u32_e32 v8, 0xfffffc10, v8
	v_cndmask_b32_e64 v5, 0, 1, vcc_lo
	v_med3_i32 v9, v9, 0, 13
	v_and_or_b32 v5, 0xffe, v7, v5
	v_or_b32_e32 v7, 0x1000, v5
	v_lshrrev_b32_e32 v10, v9, v7
	v_lshlrev_b32_e32 v9, v9, v10
	v_cmp_ne_u32_e32 vcc_lo, v9, v7
	v_lshl_or_b32 v9, v8, 12, v5
	v_cndmask_b32_e64 v7, 0, 1, vcc_lo
	v_cmp_gt_i32_e32 vcc_lo, 1, v8
	v_or_b32_e32 v7, v10, v7
	v_cndmask_b32_e32 v7, v9, v7, vcc_lo
	v_and_b32_e32 v9, 7, v7
	v_lshrrev_b32_e32 v7, 2, v7
	v_cmp_lt_i32_e32 vcc_lo, 5, v9
	v_cmp_eq_u32_e64 s0, 3, v9
	s_or_b32 vcc_lo, s0, vcc_lo
	v_add_co_ci_u32_e32 v7, vcc_lo, 0, v7, vcc_lo
	v_cmp_gt_i32_e32 vcc_lo, 31, v8
	v_cndmask_b32_e32 v7, 0x7c00, v7, vcc_lo
	v_cmp_ne_u32_e32 vcc_lo, 0, v5
	v_cndmask_b32_e64 v5, 0, 1, vcc_lo
	v_cmp_eq_u32_e32 vcc_lo, 0x40f, v8
	v_lshl_or_b32 v5, v5, 9, 0x7c00
	v_cndmask_b32_e32 v5, v7, v5, vcc_lo
	v_cmp_ne_u32_e32 vcc_lo, 0, v0
	v_bfe_u32 v7, v1, 20, 11
	v_and_or_b32 v5, 0x8000, v6, v5
	v_cndmask_b32_e64 v0, 0, 1, vcc_lo
	v_lshrrev_b32_e32 v6, 8, v1
	v_sub_nc_u32_e32 v8, 0x3f1, v7
	v_add_nc_u32_e32 v7, 0xfffffc10, v7
	v_lshrrev_b32_e32 v1, 16, v1
	v_and_or_b32 v0, 0xffe, v6, v0
	v_med3_i32 v8, v8, 0, 13
	v_or_b32_e32 v6, 0x1000, v0
	v_lshrrev_b32_e32 v9, v8, v6
	v_lshlrev_b32_e32 v8, v8, v9
	v_cmp_ne_u32_e32 vcc_lo, v8, v6
	v_lshl_or_b32 v8, v7, 12, v0
	v_cndmask_b32_e64 v6, 0, 1, vcc_lo
	v_cmp_gt_i32_e32 vcc_lo, 1, v7
	v_or_b32_e32 v6, v9, v6
	v_cndmask_b32_e32 v6, v8, v6, vcc_lo
	v_and_b32_e32 v8, 7, v6
	v_lshrrev_b32_e32 v6, 2, v6
	v_cmp_lt_i32_e32 vcc_lo, 5, v8
	v_cmp_eq_u32_e64 s0, 3, v8
	s_or_b32 vcc_lo, s0, vcc_lo
	v_add_co_ci_u32_e32 v6, vcc_lo, 0, v6, vcc_lo
	v_cmp_gt_i32_e32 vcc_lo, 31, v7
	v_cndmask_b32_e32 v6, 0x7c00, v6, vcc_lo
	v_cmp_ne_u32_e32 vcc_lo, 0, v0
	v_cndmask_b32_e64 v0, 0, 1, vcc_lo
	v_cmp_eq_u32_e32 vcc_lo, 0x40f, v7
	v_lshl_or_b32 v0, v0, 9, 0x7c00
	v_cndmask_b32_e32 v0, v6, v0, vcc_lo
	v_add_co_u32 v3, vcc_lo, v3, s4
	v_add_co_ci_u32_e32 v4, vcc_lo, s5, v4, vcc_lo
	v_and_or_b32 v0, 0x8000, v1, v0
	v_and_b32_e32 v1, 0xffff, v5
	v_lshl_or_b32 v0, v0, 16, v1
	global_store_dword v[3:4], v0, off
	ds_read2_b32 v[0:1], v140 offset0:108 offset1:198
	s_waitcnt lgkmcnt(0)
	v_lshrrev_b32_e32 v7, 16, v0
	v_mul_f16_sdwa v5, v135, v7 dst_sel:DWORD dst_unused:UNUSED_PAD src0_sel:WORD_1 src1_sel:DWORD
	v_fmac_f16_e32 v5, v135, v0
	v_mul_f16_sdwa v0, v135, v0 dst_sel:DWORD dst_unused:UNUSED_PAD src0_sel:WORD_1 src1_sel:DWORD
	v_cvt_f32_f16_e32 v5, v5
	v_fma_f16 v0, v135, v7, -v0
	v_cvt_f64_f32_e32 v[5:6], v5
	v_cvt_f32_f16_e32 v0, v0
	v_mul_f64 v[5:6], v[5:6], s[2:3]
	v_and_or_b32 v5, 0x1ff, v6, v5
	v_lshrrev_b32_e32 v8, 8, v6
	v_bfe_u32 v9, v6, 20, 11
	v_lshrrev_b32_e32 v6, 16, v6
	v_cmp_ne_u32_e32 vcc_lo, 0, v5
	v_sub_nc_u32_e32 v10, 0x3f1, v9
	v_add_nc_u32_e32 v9, 0xfffffc10, v9
	v_cndmask_b32_e64 v5, 0, 1, vcc_lo
	v_med3_i32 v10, v10, 0, 13
	v_and_or_b32 v5, 0xffe, v8, v5
	v_or_b32_e32 v8, 0x1000, v5
	v_lshrrev_b32_e32 v11, v10, v8
	v_lshlrev_b32_e32 v10, v10, v11
	v_cmp_ne_u32_e32 vcc_lo, v10, v8
	v_lshl_or_b32 v10, v9, 12, v5
	v_cndmask_b32_e64 v8, 0, 1, vcc_lo
	v_cmp_gt_i32_e32 vcc_lo, 1, v9
	v_or_b32_e32 v8, v11, v8
	v_cndmask_b32_e32 v8, v10, v8, vcc_lo
	v_and_b32_e32 v10, 7, v8
	v_lshrrev_b32_e32 v8, 2, v8
	v_cmp_lt_i32_e32 vcc_lo, 5, v10
	v_cmp_eq_u32_e64 s0, 3, v10
	s_or_b32 vcc_lo, s0, vcc_lo
	v_add_co_ci_u32_e32 v8, vcc_lo, 0, v8, vcc_lo
	v_cmp_gt_i32_e32 vcc_lo, 31, v9
	v_cndmask_b32_e32 v8, 0x7c00, v8, vcc_lo
	v_cmp_ne_u32_e32 vcc_lo, 0, v5
	v_cndmask_b32_e64 v5, 0, 1, vcc_lo
	v_cmp_eq_u32_e32 vcc_lo, 0x40f, v9
	v_lshl_or_b32 v5, v5, 9, 0x7c00
	v_cndmask_b32_e32 v5, v8, v5, vcc_lo
	v_and_or_b32 v8, 0x8000, v6, v5
	v_cvt_f64_f32_e32 v[5:6], v0
	v_mul_f64 v[5:6], v[5:6], s[2:3]
	v_and_or_b32 v0, 0x1ff, v6, v5
	v_lshrrev_b32_e32 v5, 8, v6
	v_bfe_u32 v7, v6, 20, 11
	v_cmp_ne_u32_e32 vcc_lo, 0, v0
	v_sub_nc_u32_e32 v9, 0x3f1, v7
	v_add_nc_u32_e32 v7, 0xfffffc10, v7
	v_cndmask_b32_e64 v0, 0, 1, vcc_lo
	v_med3_i32 v9, v9, 0, 13
	v_and_or_b32 v0, 0xffe, v5, v0
	v_or_b32_e32 v5, 0x1000, v0
	v_lshrrev_b32_e32 v10, v9, v5
	v_lshlrev_b32_e32 v9, v9, v10
	v_cmp_ne_u32_e32 vcc_lo, v9, v5
	v_lshl_or_b32 v9, v7, 12, v0
	v_cndmask_b32_e64 v5, 0, 1, vcc_lo
	v_cmp_gt_i32_e32 vcc_lo, 1, v7
	v_or_b32_e32 v5, v10, v5
	v_cndmask_b32_e32 v5, v9, v5, vcc_lo
	v_and_b32_e32 v9, 7, v5
	v_lshrrev_b32_e32 v5, 2, v5
	v_cmp_lt_i32_e32 vcc_lo, 5, v9
	v_cmp_eq_u32_e64 s0, 3, v9
	s_or_b32 vcc_lo, s0, vcc_lo
	v_add_co_ci_u32_e32 v5, vcc_lo, 0, v5, vcc_lo
	v_cmp_gt_i32_e32 vcc_lo, 31, v7
	v_cndmask_b32_e32 v5, 0x7c00, v5, vcc_lo
	v_cmp_ne_u32_e32 vcc_lo, 0, v0
	v_cndmask_b32_e64 v0, 0, 1, vcc_lo
	v_cmp_eq_u32_e32 vcc_lo, 0x40f, v7
	v_lshl_or_b32 v0, v0, 9, 0x7c00
	v_cndmask_b32_e32 v0, v5, v0, vcc_lo
	v_lshrrev_b32_e32 v5, 16, v6
	v_and_or_b32 v0, 0x8000, v5, v0
	v_and_b32_e32 v5, 0xffff, v8
	v_lshl_or_b32 v0, v0, 16, v5
	v_add_co_u32 v5, vcc_lo, v3, s6
	v_add_co_ci_u32_e32 v6, vcc_lo, s1, v4, vcc_lo
	ds_read2_b32 v[3:4], v134 offset0:112 offset1:202
	global_store_dword v[5:6], v0, off
	s_waitcnt lgkmcnt(0)
	v_lshrrev_b32_e32 v0, 16, v3
	v_mul_f16_sdwa v7, v133, v0 dst_sel:DWORD dst_unused:UNUSED_PAD src0_sel:WORD_1 src1_sel:DWORD
	v_fmac_f16_e32 v7, v133, v3
	v_mul_f16_sdwa v3, v133, v3 dst_sel:DWORD dst_unused:UNUSED_PAD src0_sel:WORD_1 src1_sel:DWORD
	v_cvt_f32_f16_e32 v7, v7
	v_fma_f16 v0, v133, v0, -v3
	v_cvt_f64_f32_e32 v[7:8], v7
	v_cvt_f32_f16_e32 v0, v0
	v_mul_f64 v[7:8], v[7:8], s[2:3]
	v_and_or_b32 v7, 0x1ff, v8, v7
	v_lshrrev_b32_e32 v9, 8, v8
	v_bfe_u32 v10, v8, 20, 11
	v_lshrrev_b32_e32 v8, 16, v8
	v_cmp_ne_u32_e32 vcc_lo, 0, v7
	v_sub_nc_u32_e32 v11, 0x3f1, v10
	v_add_nc_u32_e32 v10, 0xfffffc10, v10
	v_cndmask_b32_e64 v7, 0, 1, vcc_lo
	v_med3_i32 v11, v11, 0, 13
	v_and_or_b32 v7, 0xffe, v9, v7
	v_or_b32_e32 v9, 0x1000, v7
	v_lshrrev_b32_e32 v12, v11, v9
	v_lshlrev_b32_e32 v11, v11, v12
	v_cmp_ne_u32_e32 vcc_lo, v11, v9
	v_lshl_or_b32 v11, v10, 12, v7
	v_cndmask_b32_e64 v9, 0, 1, vcc_lo
	v_cmp_gt_i32_e32 vcc_lo, 1, v10
	v_or_b32_e32 v9, v12, v9
	v_cndmask_b32_e32 v9, v11, v9, vcc_lo
	v_and_b32_e32 v11, 7, v9
	v_lshrrev_b32_e32 v9, 2, v9
	v_cmp_lt_i32_e32 vcc_lo, 5, v11
	v_cmp_eq_u32_e64 s0, 3, v11
	s_or_b32 vcc_lo, s0, vcc_lo
	v_add_co_ci_u32_e32 v9, vcc_lo, 0, v9, vcc_lo
	v_cmp_gt_i32_e32 vcc_lo, 31, v10
	v_cndmask_b32_e32 v9, 0x7c00, v9, vcc_lo
	v_cmp_ne_u32_e32 vcc_lo, 0, v7
	v_cndmask_b32_e64 v7, 0, 1, vcc_lo
	v_cmp_eq_u32_e32 vcc_lo, 0x40f, v10
	v_lshl_or_b32 v7, v7, 9, 0x7c00
	v_cndmask_b32_e32 v7, v9, v7, vcc_lo
	v_and_or_b32 v9, 0x8000, v8, v7
	v_cvt_f64_f32_e32 v[7:8], v0
	v_mul_f64 v[7:8], v[7:8], s[2:3]
	v_and_or_b32 v0, 0x1ff, v8, v7
	v_lshrrev_b32_e32 v3, 8, v8
	v_bfe_u32 v7, v8, 20, 11
	v_cmp_ne_u32_e32 vcc_lo, 0, v0
	v_sub_nc_u32_e32 v10, 0x3f1, v7
	v_add_nc_u32_e32 v7, 0xfffffc10, v7
	v_cndmask_b32_e64 v0, 0, 1, vcc_lo
	v_med3_i32 v10, v10, 0, 13
	v_and_or_b32 v0, 0xffe, v3, v0
	v_or_b32_e32 v3, 0x1000, v0
	v_lshrrev_b32_e32 v11, v10, v3
	v_lshlrev_b32_e32 v10, v10, v11
	v_cmp_ne_u32_e32 vcc_lo, v10, v3
	v_lshl_or_b32 v10, v7, 12, v0
	v_cndmask_b32_e64 v3, 0, 1, vcc_lo
	v_cmp_gt_i32_e32 vcc_lo, 1, v7
	v_or_b32_e32 v3, v11, v3
	v_cndmask_b32_e32 v3, v10, v3, vcc_lo
	v_and_b32_e32 v10, 7, v3
	v_lshrrev_b32_e32 v3, 2, v3
	v_cmp_lt_i32_e32 vcc_lo, 5, v10
	v_cmp_eq_u32_e64 s0, 3, v10
	s_or_b32 vcc_lo, s0, vcc_lo
	v_add_co_ci_u32_e32 v3, vcc_lo, 0, v3, vcc_lo
	v_cmp_gt_i32_e32 vcc_lo, 31, v7
	v_cndmask_b32_e32 v3, 0x7c00, v3, vcc_lo
	v_cmp_ne_u32_e32 vcc_lo, 0, v0
	v_cndmask_b32_e64 v0, 0, 1, vcc_lo
	v_cmp_eq_u32_e32 vcc_lo, 0x40f, v7
	v_lshl_or_b32 v0, v0, 9, 0x7c00
	v_cndmask_b32_e32 v0, v3, v0, vcc_lo
	v_lshrrev_b32_e32 v3, 16, v8
	v_add_co_u32 v5, vcc_lo, v5, s6
	v_add_co_ci_u32_e32 v6, vcc_lo, s1, v6, vcc_lo
	v_and_or_b32 v0, 0x8000, v3, v0
	v_and_b32_e32 v3, 0xffff, v9
	v_lshl_or_b32 v0, v0, 16, v3
	global_store_dword v[5:6], v0, off
	v_lshrrev_b32_e32 v0, 16, v2
	v_mul_f16_sdwa v3, v132, v0 dst_sel:DWORD dst_unused:UNUSED_PAD src0_sel:WORD_1 src1_sel:DWORD
	v_fmac_f16_e32 v3, v132, v2
	v_mul_f16_sdwa v2, v132, v2 dst_sel:DWORD dst_unused:UNUSED_PAD src0_sel:WORD_1 src1_sel:DWORD
	v_cvt_f32_f16_e32 v3, v3
	v_fma_f16 v0, v132, v0, -v2
	v_cvt_f64_f32_e32 v[7:8], v3
	v_cvt_f32_f16_e32 v0, v0
	v_mul_f64 v[7:8], v[7:8], s[2:3]
	v_and_or_b32 v3, 0x1ff, v8, v7
	v_lshrrev_b32_e32 v7, 8, v8
	v_bfe_u32 v9, v8, 20, 11
	v_cmp_ne_u32_e32 vcc_lo, 0, v3
	v_sub_nc_u32_e32 v10, 0x3f1, v9
	v_add_nc_u32_e32 v9, 0xfffffc10, v9
	v_cndmask_b32_e64 v3, 0, 1, vcc_lo
	v_med3_i32 v10, v10, 0, 13
	v_and_or_b32 v3, 0xffe, v7, v3
	v_or_b32_e32 v7, 0x1000, v3
	v_lshrrev_b32_e32 v11, v10, v7
	v_lshlrev_b32_e32 v10, v10, v11
	v_cmp_ne_u32_e32 vcc_lo, v10, v7
	v_lshl_or_b32 v10, v9, 12, v3
	v_cndmask_b32_e64 v7, 0, 1, vcc_lo
	v_cmp_gt_i32_e32 vcc_lo, 1, v9
	v_or_b32_e32 v7, v11, v7
	v_cndmask_b32_e32 v7, v10, v7, vcc_lo
	v_and_b32_e32 v10, 7, v7
	v_lshrrev_b32_e32 v7, 2, v7
	v_cmp_lt_i32_e32 vcc_lo, 5, v10
	v_cmp_eq_u32_e64 s0, 3, v10
	s_or_b32 vcc_lo, s0, vcc_lo
	v_add_co_ci_u32_e32 v7, vcc_lo, 0, v7, vcc_lo
	v_cmp_gt_i32_e32 vcc_lo, 31, v9
	v_cndmask_b32_e32 v7, 0x7c00, v7, vcc_lo
	v_cmp_ne_u32_e32 vcc_lo, 0, v3
	v_cndmask_b32_e64 v3, 0, 1, vcc_lo
	v_cmp_eq_u32_e32 vcc_lo, 0x40f, v9
	v_lshl_or_b32 v3, v3, 9, 0x7c00
	v_cndmask_b32_e32 v3, v7, v3, vcc_lo
	v_lshrrev_b32_e32 v7, 16, v8
	v_and_or_b32 v7, 0x8000, v7, v3
	v_cvt_f64_f32_e32 v[2:3], v0
	v_mul_f64 v[2:3], v[2:3], s[2:3]
	v_and_or_b32 v0, 0x1ff, v3, v2
	v_lshrrev_b32_e32 v2, 8, v3
	v_bfe_u32 v8, v3, 20, 11
	v_cmp_ne_u32_e32 vcc_lo, 0, v0
	v_sub_nc_u32_e32 v9, 0x3f1, v8
	v_add_nc_u32_e32 v8, 0xfffffc10, v8
	v_cndmask_b32_e64 v0, 0, 1, vcc_lo
	v_med3_i32 v9, v9, 0, 13
	v_and_or_b32 v0, 0xffe, v2, v0
	v_or_b32_e32 v2, 0x1000, v0
	v_lshrrev_b32_e32 v10, v9, v2
	v_lshlrev_b32_e32 v9, v9, v10
	v_cmp_ne_u32_e32 vcc_lo, v9, v2
	v_lshl_or_b32 v9, v8, 12, v0
	v_cndmask_b32_e64 v2, 0, 1, vcc_lo
	v_cmp_gt_i32_e32 vcc_lo, 1, v8
	v_or_b32_e32 v2, v10, v2
	v_cndmask_b32_e32 v2, v9, v2, vcc_lo
	v_and_b32_e32 v9, 7, v2
	v_lshrrev_b32_e32 v2, 2, v2
	v_cmp_lt_i32_e32 vcc_lo, 5, v9
	v_cmp_eq_u32_e64 s0, 3, v9
	s_or_b32 vcc_lo, s0, vcc_lo
	v_add_co_ci_u32_e32 v2, vcc_lo, 0, v2, vcc_lo
	v_cmp_gt_i32_e32 vcc_lo, 31, v8
	v_cndmask_b32_e32 v2, 0x7c00, v2, vcc_lo
	v_cmp_ne_u32_e32 vcc_lo, 0, v0
	v_cndmask_b32_e64 v0, 0, 1, vcc_lo
	v_cmp_eq_u32_e32 vcc_lo, 0x40f, v8
	v_lshl_or_b32 v0, v0, 9, 0x7c00
	v_cndmask_b32_e32 v0, v2, v0, vcc_lo
	v_lshrrev_b32_e32 v2, 16, v3
	v_and_or_b32 v0, 0x8000, v2, v0
	v_and_b32_e32 v2, 0xffff, v7
	v_lshl_or_b32 v0, v0, 16, v2
	v_add_co_u32 v2, vcc_lo, v5, s4
	v_add_co_ci_u32_e32 v3, vcc_lo, s5, v6, vcc_lo
	global_store_dword v[2:3], v0, off
	v_lshrrev_b32_e32 v0, 16, v1
	v_mul_f16_sdwa v5, v131, v0 dst_sel:DWORD dst_unused:UNUSED_PAD src0_sel:WORD_1 src1_sel:DWORD
	v_fmac_f16_e32 v5, v131, v1
	v_mul_f16_sdwa v1, v131, v1 dst_sel:DWORD dst_unused:UNUSED_PAD src0_sel:WORD_1 src1_sel:DWORD
	v_cvt_f32_f16_e32 v5, v5
	v_fma_f16 v0, v131, v0, -v1
	v_cvt_f64_f32_e32 v[5:6], v5
	v_cvt_f32_f16_e32 v0, v0
	v_cvt_f64_f32_e32 v[0:1], v0
	v_mul_f64 v[5:6], v[5:6], s[2:3]
	v_mul_f64 v[0:1], v[0:1], s[2:3]
	v_and_or_b32 v5, 0x1ff, v6, v5
	v_lshrrev_b32_e32 v7, 8, v6
	v_bfe_u32 v8, v6, 20, 11
	v_lshrrev_b32_e32 v6, 16, v6
	v_cmp_ne_u32_e32 vcc_lo, 0, v5
	v_and_or_b32 v0, 0x1ff, v1, v0
	v_sub_nc_u32_e32 v9, 0x3f1, v8
	v_add_nc_u32_e32 v8, 0xfffffc10, v8
	v_cndmask_b32_e64 v5, 0, 1, vcc_lo
	v_med3_i32 v9, v9, 0, 13
	v_and_or_b32 v5, 0xffe, v7, v5
	v_or_b32_e32 v7, 0x1000, v5
	v_lshrrev_b32_e32 v10, v9, v7
	v_lshlrev_b32_e32 v9, v9, v10
	v_cmp_ne_u32_e32 vcc_lo, v9, v7
	v_lshl_or_b32 v9, v8, 12, v5
	v_cndmask_b32_e64 v7, 0, 1, vcc_lo
	v_cmp_gt_i32_e32 vcc_lo, 1, v8
	v_or_b32_e32 v7, v10, v7
	v_cndmask_b32_e32 v7, v9, v7, vcc_lo
	v_and_b32_e32 v9, 7, v7
	v_lshrrev_b32_e32 v7, 2, v7
	v_cmp_lt_i32_e32 vcc_lo, 5, v9
	v_cmp_eq_u32_e64 s0, 3, v9
	s_or_b32 vcc_lo, s0, vcc_lo
	v_add_co_ci_u32_e32 v7, vcc_lo, 0, v7, vcc_lo
	v_cmp_gt_i32_e32 vcc_lo, 31, v8
	v_cndmask_b32_e32 v7, 0x7c00, v7, vcc_lo
	v_cmp_ne_u32_e32 vcc_lo, 0, v5
	v_cndmask_b32_e64 v5, 0, 1, vcc_lo
	v_cmp_eq_u32_e32 vcc_lo, 0x40f, v8
	v_lshl_or_b32 v5, v5, 9, 0x7c00
	v_cndmask_b32_e32 v5, v7, v5, vcc_lo
	v_cmp_ne_u32_e32 vcc_lo, 0, v0
	v_bfe_u32 v7, v1, 20, 11
	v_and_or_b32 v5, 0x8000, v6, v5
	v_cndmask_b32_e64 v0, 0, 1, vcc_lo
	v_lshrrev_b32_e32 v6, 8, v1
	v_sub_nc_u32_e32 v8, 0x3f1, v7
	v_add_nc_u32_e32 v7, 0xfffffc10, v7
	v_lshrrev_b32_e32 v1, 16, v1
	v_and_or_b32 v0, 0xffe, v6, v0
	v_med3_i32 v8, v8, 0, 13
	v_or_b32_e32 v6, 0x1000, v0
	v_lshrrev_b32_e32 v9, v8, v6
	v_lshlrev_b32_e32 v8, v8, v9
	v_cmp_ne_u32_e32 vcc_lo, v8, v6
	v_lshl_or_b32 v8, v7, 12, v0
	v_cndmask_b32_e64 v6, 0, 1, vcc_lo
	v_cmp_gt_i32_e32 vcc_lo, 1, v7
	v_or_b32_e32 v6, v9, v6
	v_cndmask_b32_e32 v6, v8, v6, vcc_lo
	v_and_b32_e32 v8, 7, v6
	v_lshrrev_b32_e32 v6, 2, v6
	v_cmp_lt_i32_e32 vcc_lo, 5, v8
	v_cmp_eq_u32_e64 s0, 3, v8
	s_or_b32 vcc_lo, s0, vcc_lo
	v_add_co_ci_u32_e32 v6, vcc_lo, 0, v6, vcc_lo
	v_cmp_gt_i32_e32 vcc_lo, 31, v7
	v_cndmask_b32_e32 v6, 0x7c00, v6, vcc_lo
	v_cmp_ne_u32_e32 vcc_lo, 0, v0
	v_cndmask_b32_e64 v0, 0, 1, vcc_lo
	v_cmp_eq_u32_e32 vcc_lo, 0x40f, v7
	v_lshl_or_b32 v0, v0, 9, 0x7c00
	v_cndmask_b32_e32 v0, v6, v0, vcc_lo
	v_and_or_b32 v0, 0x8000, v1, v0
	v_and_b32_e32 v1, 0xffff, v5
	v_lshl_or_b32 v5, v0, 16, v1
	v_add_co_u32 v0, vcc_lo, v2, s6
	v_add_co_ci_u32_e32 v1, vcc_lo, s1, v3, vcc_lo
	global_store_dword v[0:1], v5, off
	v_lshrrev_b32_e32 v5, 16, v4
	v_mul_f16_sdwa v2, v130, v5 dst_sel:DWORD dst_unused:UNUSED_PAD src0_sel:WORD_1 src1_sel:DWORD
	v_fmac_f16_e32 v2, v130, v4
	v_cvt_f32_f16_e32 v2, v2
	v_cvt_f64_f32_e32 v[2:3], v2
	v_mul_f64 v[2:3], v[2:3], s[2:3]
	v_and_or_b32 v2, 0x1ff, v3, v2
	v_lshrrev_b32_e32 v6, 8, v3
	v_bfe_u32 v7, v3, 20, 11
	v_lshrrev_b32_e32 v3, 16, v3
	v_cmp_ne_u32_e32 vcc_lo, 0, v2
	v_sub_nc_u32_e32 v8, 0x3f1, v7
	v_add_nc_u32_e32 v7, 0xfffffc10, v7
	v_cndmask_b32_e64 v2, 0, 1, vcc_lo
	v_med3_i32 v8, v8, 0, 13
	v_and_or_b32 v2, 0xffe, v6, v2
	v_or_b32_e32 v6, 0x1000, v2
	v_lshrrev_b32_e32 v9, v8, v6
	v_lshlrev_b32_e32 v8, v8, v9
	v_cmp_ne_u32_e32 vcc_lo, v8, v6
	v_lshl_or_b32 v8, v7, 12, v2
	v_cndmask_b32_e64 v6, 0, 1, vcc_lo
	v_cmp_gt_i32_e32 vcc_lo, 1, v7
	v_or_b32_e32 v6, v9, v6
	v_cndmask_b32_e32 v6, v8, v6, vcc_lo
	v_and_b32_e32 v8, 7, v6
	v_lshrrev_b32_e32 v6, 2, v6
	v_cmp_lt_i32_e32 vcc_lo, 5, v8
	v_cmp_eq_u32_e64 s0, 3, v8
	s_or_b32 vcc_lo, s0, vcc_lo
	v_add_co_ci_u32_e32 v6, vcc_lo, 0, v6, vcc_lo
	v_cmp_gt_i32_e32 vcc_lo, 31, v7
	v_cndmask_b32_e32 v6, 0x7c00, v6, vcc_lo
	v_cmp_ne_u32_e32 vcc_lo, 0, v2
	v_cndmask_b32_e64 v2, 0, 1, vcc_lo
	v_cmp_eq_u32_e32 vcc_lo, 0x40f, v7
	v_lshl_or_b32 v2, v2, 9, 0x7c00
	v_cndmask_b32_e32 v2, v6, v2, vcc_lo
	v_and_or_b32 v6, 0x8000, v3, v2
	v_mul_f16_sdwa v2, v130, v4 dst_sel:DWORD dst_unused:UNUSED_PAD src0_sel:WORD_1 src1_sel:DWORD
	v_fma_f16 v2, v130, v5, -v2
	v_cvt_f32_f16_e32 v2, v2
	v_cvt_f64_f32_e32 v[2:3], v2
	v_mul_f64 v[2:3], v[2:3], s[2:3]
	v_and_or_b32 v2, 0x1ff, v3, v2
	v_lshrrev_b32_e32 v4, 8, v3
	v_bfe_u32 v5, v3, 20, 11
	v_lshrrev_b32_e32 v3, 16, v3
	v_cmp_ne_u32_e32 vcc_lo, 0, v2
	v_sub_nc_u32_e32 v7, 0x3f1, v5
	v_add_nc_u32_e32 v5, 0xfffffc10, v5
	v_cndmask_b32_e64 v2, 0, 1, vcc_lo
	v_med3_i32 v7, v7, 0, 13
	v_and_or_b32 v2, 0xffe, v4, v2
	v_or_b32_e32 v4, 0x1000, v2
	v_lshrrev_b32_e32 v8, v7, v4
	v_lshlrev_b32_e32 v7, v7, v8
	v_cmp_ne_u32_e32 vcc_lo, v7, v4
	v_lshl_or_b32 v7, v5, 12, v2
	v_cndmask_b32_e64 v4, 0, 1, vcc_lo
	v_cmp_gt_i32_e32 vcc_lo, 1, v5
	v_or_b32_e32 v4, v8, v4
	v_cndmask_b32_e32 v4, v7, v4, vcc_lo
	v_and_b32_e32 v7, 7, v4
	v_lshrrev_b32_e32 v4, 2, v4
	v_cmp_lt_i32_e32 vcc_lo, 5, v7
	v_cmp_eq_u32_e64 s0, 3, v7
	s_or_b32 vcc_lo, s0, vcc_lo
	v_add_co_ci_u32_e32 v4, vcc_lo, 0, v4, vcc_lo
	v_cmp_gt_i32_e32 vcc_lo, 31, v5
	v_cndmask_b32_e32 v4, 0x7c00, v4, vcc_lo
	v_cmp_ne_u32_e32 vcc_lo, 0, v2
	v_cndmask_b32_e64 v2, 0, 1, vcc_lo
	v_cmp_eq_u32_e32 vcc_lo, 0x40f, v5
	v_lshl_or_b32 v2, v2, 9, 0x7c00
	v_cndmask_b32_e32 v2, v4, v2, vcc_lo
	v_add_co_u32 v0, vcc_lo, v0, s6
	v_add_co_ci_u32_e32 v1, vcc_lo, s1, v1, vcc_lo
	v_and_or_b32 v2, 0x8000, v3, v2
	v_and_b32_e32 v3, 0xffff, v6
	v_lshl_or_b32 v2, v2, 16, v3
	ds_read2_b32 v[3:4], v129 offset0:28 offset1:118
	global_store_dword v[0:1], v2, off
	s_waitcnt lgkmcnt(0)
	v_lshrrev_b32_e32 v2, 16, v3
	v_mul_f16_sdwa v5, v128, v2 dst_sel:DWORD dst_unused:UNUSED_PAD src0_sel:WORD_1 src1_sel:DWORD
	v_fmac_f16_e32 v5, v128, v3
	v_mul_f16_sdwa v3, v128, v3 dst_sel:DWORD dst_unused:UNUSED_PAD src0_sel:WORD_1 src1_sel:DWORD
	v_cvt_f32_f16_e32 v5, v5
	v_fma_f16 v2, v128, v2, -v3
	v_cvt_f64_f32_e32 v[5:6], v5
	v_cvt_f32_f16_e32 v2, v2
	v_cvt_f64_f32_e32 v[2:3], v2
	v_mul_f64 v[5:6], v[5:6], s[2:3]
	v_mul_f64 v[2:3], v[2:3], s[2:3]
	v_and_or_b32 v5, 0x1ff, v6, v5
	v_lshrrev_b32_e32 v7, 8, v6
	v_bfe_u32 v8, v6, 20, 11
	v_lshrrev_b32_e32 v6, 16, v6
	v_cmp_ne_u32_e32 vcc_lo, 0, v5
	v_and_or_b32 v2, 0x1ff, v3, v2
	v_sub_nc_u32_e32 v9, 0x3f1, v8
	v_add_nc_u32_e32 v8, 0xfffffc10, v8
	v_cndmask_b32_e64 v5, 0, 1, vcc_lo
	v_med3_i32 v9, v9, 0, 13
	v_and_or_b32 v5, 0xffe, v7, v5
	v_or_b32_e32 v7, 0x1000, v5
	v_lshrrev_b32_e32 v10, v9, v7
	v_lshlrev_b32_e32 v9, v9, v10
	v_cmp_ne_u32_e32 vcc_lo, v9, v7
	v_lshl_or_b32 v9, v8, 12, v5
	v_cndmask_b32_e64 v7, 0, 1, vcc_lo
	v_cmp_gt_i32_e32 vcc_lo, 1, v8
	v_or_b32_e32 v7, v10, v7
	v_cndmask_b32_e32 v7, v9, v7, vcc_lo
	v_and_b32_e32 v9, 7, v7
	v_lshrrev_b32_e32 v7, 2, v7
	v_cmp_lt_i32_e32 vcc_lo, 5, v9
	v_cmp_eq_u32_e64 s0, 3, v9
	s_or_b32 vcc_lo, s0, vcc_lo
	v_add_co_ci_u32_e32 v7, vcc_lo, 0, v7, vcc_lo
	v_cmp_gt_i32_e32 vcc_lo, 31, v8
	v_cndmask_b32_e32 v7, 0x7c00, v7, vcc_lo
	v_cmp_ne_u32_e32 vcc_lo, 0, v5
	v_cndmask_b32_e64 v5, 0, 1, vcc_lo
	v_cmp_eq_u32_e32 vcc_lo, 0x40f, v8
	v_lshl_or_b32 v5, v5, 9, 0x7c00
	v_cndmask_b32_e32 v5, v7, v5, vcc_lo
	v_cmp_ne_u32_e32 vcc_lo, 0, v2
	v_bfe_u32 v7, v3, 20, 11
	v_and_or_b32 v5, 0x8000, v6, v5
	v_cndmask_b32_e64 v2, 0, 1, vcc_lo
	v_lshrrev_b32_e32 v6, 8, v3
	v_sub_nc_u32_e32 v8, 0x3f1, v7
	v_add_nc_u32_e32 v7, 0xfffffc10, v7
	v_lshrrev_b32_e32 v3, 16, v3
	v_and_or_b32 v2, 0xffe, v6, v2
	v_med3_i32 v8, v8, 0, 13
	v_or_b32_e32 v6, 0x1000, v2
	v_lshrrev_b32_e32 v9, v8, v6
	v_lshlrev_b32_e32 v8, v8, v9
	v_cmp_ne_u32_e32 vcc_lo, v8, v6
	v_lshl_or_b32 v8, v7, 12, v2
	v_cndmask_b32_e64 v6, 0, 1, vcc_lo
	v_cmp_gt_i32_e32 vcc_lo, 1, v7
	v_or_b32_e32 v6, v9, v6
	v_cndmask_b32_e32 v6, v8, v6, vcc_lo
	v_and_b32_e32 v8, 7, v6
	v_lshrrev_b32_e32 v6, 2, v6
	v_cmp_lt_i32_e32 vcc_lo, 5, v8
	v_cmp_eq_u32_e64 s0, 3, v8
	s_or_b32 vcc_lo, s0, vcc_lo
	v_add_co_ci_u32_e32 v6, vcc_lo, 0, v6, vcc_lo
	v_cmp_gt_i32_e32 vcc_lo, 31, v7
	v_cndmask_b32_e32 v6, 0x7c00, v6, vcc_lo
	v_cmp_ne_u32_e32 vcc_lo, 0, v2
	v_cndmask_b32_e64 v2, 0, 1, vcc_lo
	v_cmp_eq_u32_e32 vcc_lo, 0x40f, v7
	v_lshl_or_b32 v2, v2, 9, 0x7c00
	v_cndmask_b32_e32 v2, v6, v2, vcc_lo
	v_and_or_b32 v2, 0x8000, v3, v2
	v_and_b32_e32 v3, 0xffff, v5
	v_lshl_or_b32 v5, v2, 16, v3
	v_add_co_u32 v2, vcc_lo, v0, s4
	v_add_co_ci_u32_e32 v3, vcc_lo, s5, v1, vcc_lo
	ds_read2_b32 v[0:1], v127 offset0:160 offset1:250
	global_store_dword v[2:3], v5, off
	s_waitcnt lgkmcnt(0)
	v_lshrrev_b32_e32 v7, 16, v0
	v_mul_f16_sdwa v5, v125, v7 dst_sel:DWORD dst_unused:UNUSED_PAD src0_sel:WORD_1 src1_sel:DWORD
	v_fmac_f16_e32 v5, v125, v0
	v_mul_f16_sdwa v0, v125, v0 dst_sel:DWORD dst_unused:UNUSED_PAD src0_sel:WORD_1 src1_sel:DWORD
	v_cvt_f32_f16_e32 v5, v5
	v_fma_f16 v0, v125, v7, -v0
	v_cvt_f64_f32_e32 v[5:6], v5
	v_cvt_f32_f16_e32 v0, v0
	v_mul_f64 v[5:6], v[5:6], s[2:3]
	v_and_or_b32 v5, 0x1ff, v6, v5
	v_lshrrev_b32_e32 v8, 8, v6
	v_bfe_u32 v9, v6, 20, 11
	v_lshrrev_b32_e32 v6, 16, v6
	v_cmp_ne_u32_e32 vcc_lo, 0, v5
	v_sub_nc_u32_e32 v10, 0x3f1, v9
	v_add_nc_u32_e32 v9, 0xfffffc10, v9
	v_cndmask_b32_e64 v5, 0, 1, vcc_lo
	v_med3_i32 v10, v10, 0, 13
	v_and_or_b32 v5, 0xffe, v8, v5
	v_or_b32_e32 v8, 0x1000, v5
	v_lshrrev_b32_e32 v11, v10, v8
	v_lshlrev_b32_e32 v10, v10, v11
	v_cmp_ne_u32_e32 vcc_lo, v10, v8
	v_lshl_or_b32 v10, v9, 12, v5
	v_cndmask_b32_e64 v8, 0, 1, vcc_lo
	v_cmp_gt_i32_e32 vcc_lo, 1, v9
	v_or_b32_e32 v8, v11, v8
	v_cndmask_b32_e32 v8, v10, v8, vcc_lo
	v_and_b32_e32 v10, 7, v8
	v_lshrrev_b32_e32 v8, 2, v8
	v_cmp_lt_i32_e32 vcc_lo, 5, v10
	v_cmp_eq_u32_e64 s0, 3, v10
	s_or_b32 vcc_lo, s0, vcc_lo
	v_add_co_ci_u32_e32 v8, vcc_lo, 0, v8, vcc_lo
	v_cmp_gt_i32_e32 vcc_lo, 31, v9
	v_cndmask_b32_e32 v8, 0x7c00, v8, vcc_lo
	v_cmp_ne_u32_e32 vcc_lo, 0, v5
	v_cndmask_b32_e64 v5, 0, 1, vcc_lo
	v_cmp_eq_u32_e32 vcc_lo, 0x40f, v9
	v_lshl_or_b32 v5, v5, 9, 0x7c00
	v_cndmask_b32_e32 v5, v8, v5, vcc_lo
	v_and_or_b32 v8, 0x8000, v6, v5
	v_cvt_f64_f32_e32 v[5:6], v0
	v_mul_f64 v[5:6], v[5:6], s[2:3]
	v_and_or_b32 v0, 0x1ff, v6, v5
	v_lshrrev_b32_e32 v5, 8, v6
	v_bfe_u32 v7, v6, 20, 11
	v_cmp_ne_u32_e32 vcc_lo, 0, v0
	v_sub_nc_u32_e32 v9, 0x3f1, v7
	v_add_nc_u32_e32 v7, 0xfffffc10, v7
	v_cndmask_b32_e64 v0, 0, 1, vcc_lo
	v_med3_i32 v9, v9, 0, 13
	v_and_or_b32 v0, 0xffe, v5, v0
	v_or_b32_e32 v5, 0x1000, v0
	v_lshrrev_b32_e32 v10, v9, v5
	v_lshlrev_b32_e32 v9, v9, v10
	v_cmp_ne_u32_e32 vcc_lo, v9, v5
	v_lshl_or_b32 v9, v7, 12, v0
	v_cndmask_b32_e64 v5, 0, 1, vcc_lo
	v_cmp_gt_i32_e32 vcc_lo, 1, v7
	v_or_b32_e32 v5, v10, v5
	v_cndmask_b32_e32 v5, v9, v5, vcc_lo
	v_and_b32_e32 v9, 7, v5
	v_lshrrev_b32_e32 v5, 2, v5
	v_cmp_lt_i32_e32 vcc_lo, 5, v9
	v_cmp_eq_u32_e64 s0, 3, v9
	s_or_b32 vcc_lo, s0, vcc_lo
	v_add_co_ci_u32_e32 v5, vcc_lo, 0, v5, vcc_lo
	v_cmp_gt_i32_e32 vcc_lo, 31, v7
	v_cndmask_b32_e32 v5, 0x7c00, v5, vcc_lo
	v_cmp_ne_u32_e32 vcc_lo, 0, v0
	v_cndmask_b32_e64 v0, 0, 1, vcc_lo
	v_cmp_eq_u32_e32 vcc_lo, 0x40f, v7
	v_lshl_or_b32 v0, v0, 9, 0x7c00
	v_cndmask_b32_e32 v0, v5, v0, vcc_lo
	v_lshrrev_b32_e32 v5, 16, v6
	v_and_or_b32 v0, 0x8000, v5, v0
	v_and_b32_e32 v5, 0xffff, v8
	v_lshl_or_b32 v0, v0, 16, v5
	v_add_co_u32 v5, vcc_lo, v2, s6
	v_add_co_ci_u32_e32 v6, vcc_lo, s1, v3, vcc_lo
	ds_read2_b32 v[2:3], v126 offset0:36 offset1:126
	global_store_dword v[5:6], v0, off
	s_waitcnt lgkmcnt(0)
	v_lshrrev_b32_e32 v0, 16, v2
	v_mul_f16_sdwa v7, v124, v0 dst_sel:DWORD dst_unused:UNUSED_PAD src0_sel:WORD_1 src1_sel:DWORD
	v_fmac_f16_e32 v7, v124, v2
	v_mul_f16_sdwa v2, v124, v2 dst_sel:DWORD dst_unused:UNUSED_PAD src0_sel:WORD_1 src1_sel:DWORD
	v_cvt_f32_f16_e32 v7, v7
	v_fma_f16 v0, v124, v0, -v2
	v_cvt_f64_f32_e32 v[7:8], v7
	v_cvt_f32_f16_e32 v0, v0
	v_mul_f64 v[7:8], v[7:8], s[2:3]
	v_and_or_b32 v7, 0x1ff, v8, v7
	v_lshrrev_b32_e32 v9, 8, v8
	v_bfe_u32 v10, v8, 20, 11
	v_lshrrev_b32_e32 v8, 16, v8
	v_cmp_ne_u32_e32 vcc_lo, 0, v7
	v_sub_nc_u32_e32 v11, 0x3f1, v10
	v_add_nc_u32_e32 v10, 0xfffffc10, v10
	v_cndmask_b32_e64 v7, 0, 1, vcc_lo
	v_med3_i32 v11, v11, 0, 13
	v_and_or_b32 v7, 0xffe, v9, v7
	v_or_b32_e32 v9, 0x1000, v7
	v_lshrrev_b32_e32 v12, v11, v9
	v_lshlrev_b32_e32 v11, v11, v12
	v_cmp_ne_u32_e32 vcc_lo, v11, v9
	v_lshl_or_b32 v11, v10, 12, v7
	v_cndmask_b32_e64 v9, 0, 1, vcc_lo
	v_cmp_gt_i32_e32 vcc_lo, 1, v10
	v_or_b32_e32 v9, v12, v9
	v_cndmask_b32_e32 v9, v11, v9, vcc_lo
	v_and_b32_e32 v11, 7, v9
	v_lshrrev_b32_e32 v9, 2, v9
	v_cmp_lt_i32_e32 vcc_lo, 5, v11
	v_cmp_eq_u32_e64 s0, 3, v11
	s_or_b32 vcc_lo, s0, vcc_lo
	v_add_co_ci_u32_e32 v9, vcc_lo, 0, v9, vcc_lo
	v_cmp_gt_i32_e32 vcc_lo, 31, v10
	v_cndmask_b32_e32 v9, 0x7c00, v9, vcc_lo
	v_cmp_ne_u32_e32 vcc_lo, 0, v7
	v_cndmask_b32_e64 v7, 0, 1, vcc_lo
	v_cmp_eq_u32_e32 vcc_lo, 0x40f, v10
	v_lshl_or_b32 v7, v7, 9, 0x7c00
	v_cndmask_b32_e32 v7, v9, v7, vcc_lo
	v_and_or_b32 v9, 0x8000, v8, v7
	v_cvt_f64_f32_e32 v[7:8], v0
	v_mul_f64 v[7:8], v[7:8], s[2:3]
	v_and_or_b32 v0, 0x1ff, v8, v7
	v_lshrrev_b32_e32 v2, 8, v8
	v_bfe_u32 v7, v8, 20, 11
	v_cmp_ne_u32_e32 vcc_lo, 0, v0
	v_sub_nc_u32_e32 v10, 0x3f1, v7
	v_add_nc_u32_e32 v7, 0xfffffc10, v7
	v_cndmask_b32_e64 v0, 0, 1, vcc_lo
	v_med3_i32 v10, v10, 0, 13
	v_and_or_b32 v0, 0xffe, v2, v0
	v_or_b32_e32 v2, 0x1000, v0
	v_lshrrev_b32_e32 v11, v10, v2
	v_lshlrev_b32_e32 v10, v10, v11
	v_cmp_ne_u32_e32 vcc_lo, v10, v2
	v_lshl_or_b32 v10, v7, 12, v0
	v_cndmask_b32_e64 v2, 0, 1, vcc_lo
	v_cmp_gt_i32_e32 vcc_lo, 1, v7
	v_or_b32_e32 v2, v11, v2
	v_cndmask_b32_e32 v2, v10, v2, vcc_lo
	v_and_b32_e32 v10, 7, v2
	v_lshrrev_b32_e32 v2, 2, v2
	v_cmp_lt_i32_e32 vcc_lo, 5, v10
	v_cmp_eq_u32_e64 s0, 3, v10
	s_or_b32 vcc_lo, s0, vcc_lo
	v_add_co_ci_u32_e32 v2, vcc_lo, 0, v2, vcc_lo
	v_cmp_gt_i32_e32 vcc_lo, 31, v7
	v_cndmask_b32_e32 v2, 0x7c00, v2, vcc_lo
	v_cmp_ne_u32_e32 vcc_lo, 0, v0
	v_cndmask_b32_e64 v0, 0, 1, vcc_lo
	v_cmp_eq_u32_e32 vcc_lo, 0x40f, v7
	v_lshl_or_b32 v0, v0, 9, 0x7c00
	v_cndmask_b32_e32 v0, v2, v0, vcc_lo
	v_lshrrev_b32_e32 v2, 16, v8
	v_add_co_u32 v5, vcc_lo, v5, s6
	v_add_co_ci_u32_e32 v6, vcc_lo, s1, v6, vcc_lo
	v_and_or_b32 v0, 0x8000, v2, v0
	v_and_b32_e32 v2, 0xffff, v9
	v_lshl_or_b32 v0, v0, 16, v2
	global_store_dword v[5:6], v0, off
	v_lshrrev_b32_e32 v0, 16, v4
	v_mul_f16_sdwa v2, v123, v0 dst_sel:DWORD dst_unused:UNUSED_PAD src0_sel:WORD_1 src1_sel:DWORD
	v_fmac_f16_e32 v2, v123, v4
	v_mul_f16_sdwa v4, v123, v4 dst_sel:DWORD dst_unused:UNUSED_PAD src0_sel:WORD_1 src1_sel:DWORD
	v_cvt_f32_f16_e32 v2, v2
	v_fma_f16 v0, v123, v0, -v4
	v_cvt_f64_f32_e32 v[7:8], v2
	v_cvt_f32_f16_e32 v0, v0
	v_mul_f64 v[7:8], v[7:8], s[2:3]
	v_and_or_b32 v2, 0x1ff, v8, v7
	v_lshrrev_b32_e32 v7, 8, v8
	v_bfe_u32 v9, v8, 20, 11
	v_cmp_ne_u32_e32 vcc_lo, 0, v2
	v_sub_nc_u32_e32 v10, 0x3f1, v9
	v_add_nc_u32_e32 v9, 0xfffffc10, v9
	v_cndmask_b32_e64 v2, 0, 1, vcc_lo
	v_med3_i32 v10, v10, 0, 13
	v_and_or_b32 v2, 0xffe, v7, v2
	v_or_b32_e32 v7, 0x1000, v2
	v_lshrrev_b32_e32 v11, v10, v7
	v_lshlrev_b32_e32 v10, v10, v11
	v_cmp_ne_u32_e32 vcc_lo, v10, v7
	v_lshl_or_b32 v10, v9, 12, v2
	v_cndmask_b32_e64 v7, 0, 1, vcc_lo
	v_cmp_gt_i32_e32 vcc_lo, 1, v9
	v_or_b32_e32 v7, v11, v7
	v_cndmask_b32_e32 v7, v10, v7, vcc_lo
	v_and_b32_e32 v10, 7, v7
	v_lshrrev_b32_e32 v7, 2, v7
	v_cmp_lt_i32_e32 vcc_lo, 5, v10
	v_cmp_eq_u32_e64 s0, 3, v10
	s_or_b32 vcc_lo, s0, vcc_lo
	v_add_co_ci_u32_e32 v7, vcc_lo, 0, v7, vcc_lo
	v_cmp_gt_i32_e32 vcc_lo, 31, v9
	v_cndmask_b32_e32 v7, 0x7c00, v7, vcc_lo
	v_cmp_ne_u32_e32 vcc_lo, 0, v2
	v_cndmask_b32_e64 v2, 0, 1, vcc_lo
	v_cmp_eq_u32_e32 vcc_lo, 0x40f, v9
	v_lshl_or_b32 v2, v2, 9, 0x7c00
	v_cndmask_b32_e32 v2, v7, v2, vcc_lo
	v_lshrrev_b32_e32 v7, 16, v8
	v_and_or_b32 v2, 0x8000, v7, v2
	v_cvt_f64_f32_e32 v[7:8], v0
	v_and_b32_e32 v2, 0xffff, v2
	v_mul_f64 v[7:8], v[7:8], s[2:3]
	v_and_or_b32 v0, 0x1ff, v8, v7
	v_lshrrev_b32_e32 v4, 8, v8
	v_bfe_u32 v7, v8, 20, 11
	v_cmp_ne_u32_e32 vcc_lo, 0, v0
	v_sub_nc_u32_e32 v9, 0x3f1, v7
	v_add_nc_u32_e32 v7, 0xfffffc10, v7
	v_cndmask_b32_e64 v0, 0, 1, vcc_lo
	v_med3_i32 v9, v9, 0, 13
	v_and_or_b32 v0, 0xffe, v4, v0
	v_or_b32_e32 v4, 0x1000, v0
	v_lshrrev_b32_e32 v10, v9, v4
	v_lshlrev_b32_e32 v9, v9, v10
	v_cmp_ne_u32_e32 vcc_lo, v9, v4
	v_lshl_or_b32 v9, v7, 12, v0
	v_cndmask_b32_e64 v4, 0, 1, vcc_lo
	v_cmp_gt_i32_e32 vcc_lo, 1, v7
	v_or_b32_e32 v4, v10, v4
	v_cndmask_b32_e32 v4, v9, v4, vcc_lo
	v_and_b32_e32 v9, 7, v4
	v_lshrrev_b32_e32 v4, 2, v4
	v_cmp_lt_i32_e32 vcc_lo, 5, v9
	v_cmp_eq_u32_e64 s0, 3, v9
	s_or_b32 vcc_lo, s0, vcc_lo
	v_add_co_ci_u32_e32 v4, vcc_lo, 0, v4, vcc_lo
	v_cmp_gt_i32_e32 vcc_lo, 31, v7
	v_cndmask_b32_e32 v4, 0x7c00, v4, vcc_lo
	v_cmp_ne_u32_e32 vcc_lo, 0, v0
	v_cndmask_b32_e64 v0, 0, 1, vcc_lo
	v_cmp_eq_u32_e32 vcc_lo, 0x40f, v7
	v_lshl_or_b32 v0, v0, 9, 0x7c00
	v_cndmask_b32_e32 v0, v4, v0, vcc_lo
	v_lshrrev_b32_e32 v4, 16, v8
	v_and_or_b32 v0, 0x8000, v4, v0
	v_add_co_u32 v4, vcc_lo, v5, s4
	v_add_co_ci_u32_e32 v5, vcc_lo, s5, v6, vcc_lo
	v_lshl_or_b32 v0, v0, 16, v2
	global_store_dword v[4:5], v0, off
	v_lshrrev_b32_e32 v0, 16, v1
	v_mul_f16_sdwa v2, v122, v0 dst_sel:DWORD dst_unused:UNUSED_PAD src0_sel:WORD_1 src1_sel:DWORD
	v_fmac_f16_e32 v2, v122, v1
	v_mul_f16_sdwa v1, v122, v1 dst_sel:DWORD dst_unused:UNUSED_PAD src0_sel:WORD_1 src1_sel:DWORD
	v_cvt_f32_f16_e32 v2, v2
	v_fma_f16 v0, v122, v0, -v1
	v_cvt_f64_f32_e32 v[6:7], v2
	v_cvt_f32_f16_e32 v0, v0
	v_cvt_f64_f32_e32 v[0:1], v0
	v_mul_f64 v[6:7], v[6:7], s[2:3]
	v_mul_f64 v[0:1], v[0:1], s[2:3]
	v_and_or_b32 v2, 0x1ff, v7, v6
	v_lshrrev_b32_e32 v6, 8, v7
	v_bfe_u32 v8, v7, 20, 11
	v_cmp_ne_u32_e32 vcc_lo, 0, v2
	v_and_or_b32 v0, 0x1ff, v1, v0
	v_sub_nc_u32_e32 v9, 0x3f1, v8
	v_add_nc_u32_e32 v8, 0xfffffc10, v8
	v_cndmask_b32_e64 v2, 0, 1, vcc_lo
	v_med3_i32 v9, v9, 0, 13
	v_and_or_b32 v2, 0xffe, v6, v2
	v_or_b32_e32 v6, 0x1000, v2
	v_lshrrev_b32_e32 v10, v9, v6
	v_lshlrev_b32_e32 v9, v9, v10
	v_cmp_ne_u32_e32 vcc_lo, v9, v6
	v_lshl_or_b32 v9, v8, 12, v2
	v_cndmask_b32_e64 v6, 0, 1, vcc_lo
	v_cmp_gt_i32_e32 vcc_lo, 1, v8
	v_or_b32_e32 v6, v10, v6
	v_cndmask_b32_e32 v6, v9, v6, vcc_lo
	v_and_b32_e32 v9, 7, v6
	v_lshrrev_b32_e32 v6, 2, v6
	v_cmp_lt_i32_e32 vcc_lo, 5, v9
	v_cmp_eq_u32_e64 s0, 3, v9
	s_or_b32 vcc_lo, s0, vcc_lo
	v_add_co_ci_u32_e32 v6, vcc_lo, 0, v6, vcc_lo
	v_cmp_gt_i32_e32 vcc_lo, 31, v8
	v_cndmask_b32_e32 v6, 0x7c00, v6, vcc_lo
	v_cmp_ne_u32_e32 vcc_lo, 0, v2
	v_cndmask_b32_e64 v2, 0, 1, vcc_lo
	v_cmp_eq_u32_e32 vcc_lo, 0x40f, v8
	v_lshl_or_b32 v2, v2, 9, 0x7c00
	v_cndmask_b32_e32 v2, v6, v2, vcc_lo
	v_lshrrev_b32_e32 v6, 16, v7
	v_cmp_ne_u32_e32 vcc_lo, 0, v0
	v_bfe_u32 v7, v1, 20, 11
	v_and_or_b32 v2, 0x8000, v6, v2
	v_cndmask_b32_e64 v0, 0, 1, vcc_lo
	v_lshrrev_b32_e32 v6, 8, v1
	v_sub_nc_u32_e32 v8, 0x3f1, v7
	v_add_nc_u32_e32 v7, 0xfffffc10, v7
	v_lshrrev_b32_e32 v1, 16, v1
	v_and_or_b32 v0, 0xffe, v6, v0
	v_med3_i32 v8, v8, 0, 13
	v_or_b32_e32 v6, 0x1000, v0
	v_lshrrev_b32_e32 v9, v8, v6
	v_lshlrev_b32_e32 v8, v8, v9
	v_cmp_ne_u32_e32 vcc_lo, v8, v6
	v_lshl_or_b32 v8, v7, 12, v0
	v_cndmask_b32_e64 v6, 0, 1, vcc_lo
	v_cmp_gt_i32_e32 vcc_lo, 1, v7
	v_or_b32_e32 v6, v9, v6
	v_cndmask_b32_e32 v6, v8, v6, vcc_lo
	v_and_b32_e32 v8, 7, v6
	v_lshrrev_b32_e32 v6, 2, v6
	v_cmp_lt_i32_e32 vcc_lo, 5, v8
	v_cmp_eq_u32_e64 s0, 3, v8
	s_or_b32 vcc_lo, s0, vcc_lo
	v_add_co_ci_u32_e32 v6, vcc_lo, 0, v6, vcc_lo
	v_cmp_gt_i32_e32 vcc_lo, 31, v7
	v_cndmask_b32_e32 v6, 0x7c00, v6, vcc_lo
	v_cmp_ne_u32_e32 vcc_lo, 0, v0
	v_cndmask_b32_e64 v0, 0, 1, vcc_lo
	v_cmp_eq_u32_e32 vcc_lo, 0x40f, v7
	v_lshl_or_b32 v0, v0, 9, 0x7c00
	v_cndmask_b32_e32 v0, v6, v0, vcc_lo
	v_and_or_b32 v0, 0x8000, v1, v0
	v_and_b32_e32 v1, 0xffff, v2
	v_lshl_or_b32 v2, v0, 16, v1
	v_add_co_u32 v0, vcc_lo, v4, s6
	v_add_co_ci_u32_e32 v1, vcc_lo, s1, v5, vcc_lo
	global_store_dword v[0:1], v2, off
	v_lshrrev_b32_e32 v2, 16, v3
	v_mul_f16_sdwa v4, v119, v2 dst_sel:DWORD dst_unused:UNUSED_PAD src0_sel:WORD_1 src1_sel:DWORD
	v_fmac_f16_e32 v4, v119, v3
	v_mul_f16_sdwa v3, v119, v3 dst_sel:DWORD dst_unused:UNUSED_PAD src0_sel:WORD_1 src1_sel:DWORD
	v_cvt_f32_f16_e32 v4, v4
	v_fma_f16 v2, v119, v2, -v3
	v_cvt_f64_f32_e32 v[4:5], v4
	v_cvt_f32_f16_e32 v2, v2
	v_cvt_f64_f32_e32 v[2:3], v2
	v_mul_f64 v[4:5], v[4:5], s[2:3]
	v_mul_f64 v[2:3], v[2:3], s[2:3]
	v_and_or_b32 v4, 0x1ff, v5, v4
	v_lshrrev_b32_e32 v6, 8, v5
	v_bfe_u32 v7, v5, 20, 11
	v_lshrrev_b32_e32 v5, 16, v5
	v_cmp_ne_u32_e32 vcc_lo, 0, v4
	v_and_or_b32 v2, 0x1ff, v3, v2
	v_sub_nc_u32_e32 v8, 0x3f1, v7
	v_add_nc_u32_e32 v7, 0xfffffc10, v7
	v_cndmask_b32_e64 v4, 0, 1, vcc_lo
	v_med3_i32 v8, v8, 0, 13
	v_and_or_b32 v4, 0xffe, v6, v4
	v_or_b32_e32 v6, 0x1000, v4
	v_lshrrev_b32_e32 v9, v8, v6
	v_lshlrev_b32_e32 v8, v8, v9
	v_cmp_ne_u32_e32 vcc_lo, v8, v6
	v_lshl_or_b32 v8, v7, 12, v4
	v_cndmask_b32_e64 v6, 0, 1, vcc_lo
	v_cmp_gt_i32_e32 vcc_lo, 1, v7
	v_or_b32_e32 v6, v9, v6
	v_cndmask_b32_e32 v6, v8, v6, vcc_lo
	v_and_b32_e32 v8, 7, v6
	v_lshrrev_b32_e32 v6, 2, v6
	v_cmp_lt_i32_e32 vcc_lo, 5, v8
	v_cmp_eq_u32_e64 s0, 3, v8
	s_or_b32 vcc_lo, s0, vcc_lo
	v_add_co_ci_u32_e32 v6, vcc_lo, 0, v6, vcc_lo
	v_cmp_gt_i32_e32 vcc_lo, 31, v7
	v_cndmask_b32_e32 v6, 0x7c00, v6, vcc_lo
	v_cmp_ne_u32_e32 vcc_lo, 0, v4
	v_cndmask_b32_e64 v4, 0, 1, vcc_lo
	v_cmp_eq_u32_e32 vcc_lo, 0x40f, v7
	v_lshl_or_b32 v4, v4, 9, 0x7c00
	v_cndmask_b32_e32 v4, v6, v4, vcc_lo
	v_cmp_ne_u32_e32 vcc_lo, 0, v2
	v_bfe_u32 v6, v3, 20, 11
	v_and_or_b32 v4, 0x8000, v5, v4
	v_cndmask_b32_e64 v2, 0, 1, vcc_lo
	v_lshrrev_b32_e32 v5, 8, v3
	v_sub_nc_u32_e32 v7, 0x3f1, v6
	v_add_nc_u32_e32 v6, 0xfffffc10, v6
	v_lshrrev_b32_e32 v3, 16, v3
	v_and_or_b32 v2, 0xffe, v5, v2
	v_med3_i32 v7, v7, 0, 13
	v_or_b32_e32 v5, 0x1000, v2
	v_lshrrev_b32_e32 v8, v7, v5
	v_lshlrev_b32_e32 v7, v7, v8
	v_cmp_ne_u32_e32 vcc_lo, v7, v5
	v_lshl_or_b32 v7, v6, 12, v2
	v_cndmask_b32_e64 v5, 0, 1, vcc_lo
	v_cmp_gt_i32_e32 vcc_lo, 1, v6
	v_or_b32_e32 v5, v8, v5
	v_cndmask_b32_e32 v5, v7, v5, vcc_lo
	v_and_b32_e32 v7, 7, v5
	v_lshrrev_b32_e32 v5, 2, v5
	v_cmp_lt_i32_e32 vcc_lo, 5, v7
	v_cmp_eq_u32_e64 s0, 3, v7
	s_or_b32 vcc_lo, s0, vcc_lo
	v_add_co_ci_u32_e32 v5, vcc_lo, 0, v5, vcc_lo
	v_cmp_gt_i32_e32 vcc_lo, 31, v6
	v_cndmask_b32_e32 v5, 0x7c00, v5, vcc_lo
	v_cmp_ne_u32_e32 vcc_lo, 0, v2
	v_cndmask_b32_e64 v2, 0, 1, vcc_lo
	v_cmp_eq_u32_e32 vcc_lo, 0x40f, v6
	v_lshl_or_b32 v2, v2, 9, 0x7c00
	v_cndmask_b32_e32 v2, v5, v2, vcc_lo
	v_and_or_b32 v2, 0x8000, v3, v2
	v_and_b32_e32 v3, 0xffff, v4
	v_lshl_or_b32 v2, v2, 16, v3
	v_add_co_u32 v3, vcc_lo, v0, s6
	v_add_co_ci_u32_e32 v4, vcc_lo, s1, v1, vcc_lo
	global_store_dword v[3:4], v2, off
	ds_read2_b32 v[1:2], v120 offset0:80 offset1:170
	s_waitcnt lgkmcnt(0)
	v_lshrrev_b32_e32 v0, 16, v1
	v_mul_f16_sdwa v5, v117, v0 dst_sel:DWORD dst_unused:UNUSED_PAD src0_sel:WORD_1 src1_sel:DWORD
	v_fmac_f16_e32 v5, v117, v1
	v_mul_f16_sdwa v1, v117, v1 dst_sel:DWORD dst_unused:UNUSED_PAD src0_sel:WORD_1 src1_sel:DWORD
	v_cvt_f32_f16_e32 v5, v5
	v_fma_f16 v0, v117, v0, -v1
	v_cvt_f64_f32_e32 v[5:6], v5
	v_cvt_f32_f16_e32 v0, v0
	v_cvt_f64_f32_e32 v[0:1], v0
	v_mul_f64 v[5:6], v[5:6], s[2:3]
	v_mul_f64 v[0:1], v[0:1], s[2:3]
	v_and_or_b32 v5, 0x1ff, v6, v5
	v_lshrrev_b32_e32 v7, 8, v6
	v_bfe_u32 v8, v6, 20, 11
	v_lshrrev_b32_e32 v6, 16, v6
	v_cmp_ne_u32_e32 vcc_lo, 0, v5
	v_and_or_b32 v0, 0x1ff, v1, v0
	v_sub_nc_u32_e32 v9, 0x3f1, v8
	v_add_nc_u32_e32 v8, 0xfffffc10, v8
	v_cndmask_b32_e64 v5, 0, 1, vcc_lo
	v_med3_i32 v9, v9, 0, 13
	v_and_or_b32 v5, 0xffe, v7, v5
	v_or_b32_e32 v7, 0x1000, v5
	v_lshrrev_b32_e32 v10, v9, v7
	v_lshlrev_b32_e32 v9, v9, v10
	v_cmp_ne_u32_e32 vcc_lo, v9, v7
	v_lshl_or_b32 v9, v8, 12, v5
	v_cndmask_b32_e64 v7, 0, 1, vcc_lo
	v_cmp_gt_i32_e32 vcc_lo, 1, v8
	v_or_b32_e32 v7, v10, v7
	v_cndmask_b32_e32 v7, v9, v7, vcc_lo
	v_and_b32_e32 v9, 7, v7
	v_lshrrev_b32_e32 v7, 2, v7
	v_cmp_lt_i32_e32 vcc_lo, 5, v9
	v_cmp_eq_u32_e64 s0, 3, v9
	s_or_b32 vcc_lo, s0, vcc_lo
	v_add_co_ci_u32_e32 v7, vcc_lo, 0, v7, vcc_lo
	v_cmp_gt_i32_e32 vcc_lo, 31, v8
	v_cndmask_b32_e32 v7, 0x7c00, v7, vcc_lo
	v_cmp_ne_u32_e32 vcc_lo, 0, v5
	v_cndmask_b32_e64 v5, 0, 1, vcc_lo
	v_cmp_eq_u32_e32 vcc_lo, 0x40f, v8
	v_lshl_or_b32 v5, v5, 9, 0x7c00
	v_cndmask_b32_e32 v5, v7, v5, vcc_lo
	v_cmp_ne_u32_e32 vcc_lo, 0, v0
	v_bfe_u32 v7, v1, 20, 11
	v_and_or_b32 v5, 0x8000, v6, v5
	v_cndmask_b32_e64 v0, 0, 1, vcc_lo
	v_lshrrev_b32_e32 v6, 8, v1
	v_sub_nc_u32_e32 v8, 0x3f1, v7
	v_add_nc_u32_e32 v7, 0xfffffc10, v7
	v_lshrrev_b32_e32 v1, 16, v1
	v_and_or_b32 v0, 0xffe, v6, v0
	v_med3_i32 v8, v8, 0, 13
	v_or_b32_e32 v6, 0x1000, v0
	v_lshrrev_b32_e32 v9, v8, v6
	v_lshlrev_b32_e32 v8, v8, v9
	v_cmp_ne_u32_e32 vcc_lo, v8, v6
	v_lshl_or_b32 v8, v7, 12, v0
	v_cndmask_b32_e64 v6, 0, 1, vcc_lo
	v_cmp_gt_i32_e32 vcc_lo, 1, v7
	v_or_b32_e32 v6, v9, v6
	v_cndmask_b32_e32 v6, v8, v6, vcc_lo
	v_and_b32_e32 v8, 7, v6
	v_lshrrev_b32_e32 v6, 2, v6
	v_cmp_lt_i32_e32 vcc_lo, 5, v8
	v_cmp_eq_u32_e64 s0, 3, v8
	s_or_b32 vcc_lo, s0, vcc_lo
	v_add_co_ci_u32_e32 v6, vcc_lo, 0, v6, vcc_lo
	v_cmp_gt_i32_e32 vcc_lo, 31, v7
	v_cndmask_b32_e32 v6, 0x7c00, v6, vcc_lo
	v_cmp_ne_u32_e32 vcc_lo, 0, v0
	v_cndmask_b32_e64 v0, 0, 1, vcc_lo
	v_cmp_eq_u32_e32 vcc_lo, 0x40f, v7
	v_lshl_or_b32 v0, v0, 9, 0x7c00
	v_cndmask_b32_e32 v0, v6, v0, vcc_lo
	v_add_co_u32 v3, vcc_lo, v3, s4
	v_add_co_ci_u32_e32 v4, vcc_lo, s5, v4, vcc_lo
	v_and_or_b32 v0, 0x8000, v1, v0
	v_and_b32_e32 v1, 0xffff, v5
	v_lshl_or_b32 v0, v0, 16, v1
	global_store_dword v[3:4], v0, off
	ds_read2_b32 v[0:1], v121 offset0:84 offset1:174
	s_waitcnt lgkmcnt(0)
	v_lshrrev_b32_e32 v7, 16, v0
	v_mul_f16_sdwa v5, v116, v7 dst_sel:DWORD dst_unused:UNUSED_PAD src0_sel:WORD_1 src1_sel:DWORD
	v_fmac_f16_e32 v5, v116, v0
	v_mul_f16_sdwa v0, v116, v0 dst_sel:DWORD dst_unused:UNUSED_PAD src0_sel:WORD_1 src1_sel:DWORD
	v_cvt_f32_f16_e32 v5, v5
	v_fma_f16 v0, v116, v7, -v0
	v_cvt_f64_f32_e32 v[5:6], v5
	v_cvt_f32_f16_e32 v0, v0
	v_mul_f64 v[5:6], v[5:6], s[2:3]
	v_and_or_b32 v5, 0x1ff, v6, v5
	v_lshrrev_b32_e32 v8, 8, v6
	v_bfe_u32 v9, v6, 20, 11
	v_lshrrev_b32_e32 v6, 16, v6
	v_cmp_ne_u32_e32 vcc_lo, 0, v5
	v_sub_nc_u32_e32 v10, 0x3f1, v9
	v_add_nc_u32_e32 v9, 0xfffffc10, v9
	v_cndmask_b32_e64 v5, 0, 1, vcc_lo
	v_med3_i32 v10, v10, 0, 13
	v_and_or_b32 v5, 0xffe, v8, v5
	v_or_b32_e32 v8, 0x1000, v5
	v_lshrrev_b32_e32 v11, v10, v8
	v_lshlrev_b32_e32 v10, v10, v11
	v_cmp_ne_u32_e32 vcc_lo, v10, v8
	v_lshl_or_b32 v10, v9, 12, v5
	v_cndmask_b32_e64 v8, 0, 1, vcc_lo
	v_cmp_gt_i32_e32 vcc_lo, 1, v9
	v_or_b32_e32 v8, v11, v8
	v_cndmask_b32_e32 v8, v10, v8, vcc_lo
	v_and_b32_e32 v10, 7, v8
	v_lshrrev_b32_e32 v8, 2, v8
	v_cmp_lt_i32_e32 vcc_lo, 5, v10
	v_cmp_eq_u32_e64 s0, 3, v10
	s_or_b32 vcc_lo, s0, vcc_lo
	v_add_co_ci_u32_e32 v8, vcc_lo, 0, v8, vcc_lo
	v_cmp_gt_i32_e32 vcc_lo, 31, v9
	v_cndmask_b32_e32 v8, 0x7c00, v8, vcc_lo
	v_cmp_ne_u32_e32 vcc_lo, 0, v5
	v_cndmask_b32_e64 v5, 0, 1, vcc_lo
	v_cmp_eq_u32_e32 vcc_lo, 0x40f, v9
	v_lshl_or_b32 v5, v5, 9, 0x7c00
	v_cndmask_b32_e32 v5, v8, v5, vcc_lo
	v_and_or_b32 v8, 0x8000, v6, v5
	v_cvt_f64_f32_e32 v[5:6], v0
	v_mul_f64 v[5:6], v[5:6], s[2:3]
	v_and_or_b32 v0, 0x1ff, v6, v5
	v_lshrrev_b32_e32 v5, 8, v6
	v_bfe_u32 v7, v6, 20, 11
	v_cmp_ne_u32_e32 vcc_lo, 0, v0
	v_sub_nc_u32_e32 v9, 0x3f1, v7
	v_add_nc_u32_e32 v7, 0xfffffc10, v7
	v_cndmask_b32_e64 v0, 0, 1, vcc_lo
	v_med3_i32 v9, v9, 0, 13
	v_and_or_b32 v0, 0xffe, v5, v0
	v_or_b32_e32 v5, 0x1000, v0
	v_lshrrev_b32_e32 v10, v9, v5
	v_lshlrev_b32_e32 v9, v9, v10
	v_cmp_ne_u32_e32 vcc_lo, v9, v5
	v_lshl_or_b32 v9, v7, 12, v0
	v_cndmask_b32_e64 v5, 0, 1, vcc_lo
	v_cmp_gt_i32_e32 vcc_lo, 1, v7
	v_or_b32_e32 v5, v10, v5
	v_cndmask_b32_e32 v5, v9, v5, vcc_lo
	v_and_b32_e32 v9, 7, v5
	v_lshrrev_b32_e32 v5, 2, v5
	v_cmp_lt_i32_e32 vcc_lo, 5, v9
	v_cmp_eq_u32_e64 s0, 3, v9
	s_or_b32 vcc_lo, s0, vcc_lo
	v_add_co_ci_u32_e32 v5, vcc_lo, 0, v5, vcc_lo
	v_cmp_gt_i32_e32 vcc_lo, 31, v7
	v_cndmask_b32_e32 v5, 0x7c00, v5, vcc_lo
	v_cmp_ne_u32_e32 vcc_lo, 0, v0
	v_cndmask_b32_e64 v0, 0, 1, vcc_lo
	v_cmp_eq_u32_e32 vcc_lo, 0x40f, v7
	v_lshl_or_b32 v0, v0, 9, 0x7c00
	v_cndmask_b32_e32 v0, v5, v0, vcc_lo
	v_lshrrev_b32_e32 v5, 16, v6
	v_and_or_b32 v0, 0x8000, v5, v0
	v_and_b32_e32 v5, 0xffff, v8
	v_lshl_or_b32 v0, v0, 16, v5
	v_add_co_u32 v5, vcc_lo, v3, s6
	v_add_co_ci_u32_e32 v6, vcc_lo, s1, v4, vcc_lo
	ds_read2_b32 v[3:4], v118 offset0:88 offset1:178
	global_store_dword v[5:6], v0, off
	s_waitcnt lgkmcnt(0)
	v_lshrrev_b32_e32 v0, 16, v3
	v_mul_f16_sdwa v7, v115, v0 dst_sel:DWORD dst_unused:UNUSED_PAD src0_sel:WORD_1 src1_sel:DWORD
	v_fmac_f16_e32 v7, v115, v3
	v_mul_f16_sdwa v3, v115, v3 dst_sel:DWORD dst_unused:UNUSED_PAD src0_sel:WORD_1 src1_sel:DWORD
	v_cvt_f32_f16_e32 v7, v7
	v_fma_f16 v0, v115, v0, -v3
	v_cvt_f64_f32_e32 v[7:8], v7
	v_cvt_f32_f16_e32 v0, v0
	v_mul_f64 v[7:8], v[7:8], s[2:3]
	v_and_or_b32 v7, 0x1ff, v8, v7
	v_lshrrev_b32_e32 v9, 8, v8
	v_bfe_u32 v10, v8, 20, 11
	v_lshrrev_b32_e32 v8, 16, v8
	v_cmp_ne_u32_e32 vcc_lo, 0, v7
	v_sub_nc_u32_e32 v11, 0x3f1, v10
	v_add_nc_u32_e32 v10, 0xfffffc10, v10
	v_cndmask_b32_e64 v7, 0, 1, vcc_lo
	v_med3_i32 v11, v11, 0, 13
	v_and_or_b32 v7, 0xffe, v9, v7
	v_or_b32_e32 v9, 0x1000, v7
	v_lshrrev_b32_e32 v12, v11, v9
	v_lshlrev_b32_e32 v11, v11, v12
	v_cmp_ne_u32_e32 vcc_lo, v11, v9
	v_lshl_or_b32 v11, v10, 12, v7
	v_cndmask_b32_e64 v9, 0, 1, vcc_lo
	v_cmp_gt_i32_e32 vcc_lo, 1, v10
	v_or_b32_e32 v9, v12, v9
	v_cndmask_b32_e32 v9, v11, v9, vcc_lo
	v_and_b32_e32 v11, 7, v9
	v_lshrrev_b32_e32 v9, 2, v9
	v_cmp_lt_i32_e32 vcc_lo, 5, v11
	v_cmp_eq_u32_e64 s0, 3, v11
	s_or_b32 vcc_lo, s0, vcc_lo
	v_add_co_ci_u32_e32 v9, vcc_lo, 0, v9, vcc_lo
	v_cmp_gt_i32_e32 vcc_lo, 31, v10
	v_cndmask_b32_e32 v9, 0x7c00, v9, vcc_lo
	v_cmp_ne_u32_e32 vcc_lo, 0, v7
	v_cndmask_b32_e64 v7, 0, 1, vcc_lo
	v_cmp_eq_u32_e32 vcc_lo, 0x40f, v10
	v_lshl_or_b32 v7, v7, 9, 0x7c00
	v_cndmask_b32_e32 v7, v9, v7, vcc_lo
	v_and_or_b32 v9, 0x8000, v8, v7
	v_cvt_f64_f32_e32 v[7:8], v0
	v_mul_f64 v[7:8], v[7:8], s[2:3]
	v_and_or_b32 v0, 0x1ff, v8, v7
	v_lshrrev_b32_e32 v3, 8, v8
	v_bfe_u32 v7, v8, 20, 11
	v_cmp_ne_u32_e32 vcc_lo, 0, v0
	v_sub_nc_u32_e32 v10, 0x3f1, v7
	v_add_nc_u32_e32 v7, 0xfffffc10, v7
	v_cndmask_b32_e64 v0, 0, 1, vcc_lo
	v_med3_i32 v10, v10, 0, 13
	v_and_or_b32 v0, 0xffe, v3, v0
	v_or_b32_e32 v3, 0x1000, v0
	v_lshrrev_b32_e32 v11, v10, v3
	v_lshlrev_b32_e32 v10, v10, v11
	v_cmp_ne_u32_e32 vcc_lo, v10, v3
	v_lshl_or_b32 v10, v7, 12, v0
	v_cndmask_b32_e64 v3, 0, 1, vcc_lo
	v_cmp_gt_i32_e32 vcc_lo, 1, v7
	v_or_b32_e32 v3, v11, v3
	v_cndmask_b32_e32 v3, v10, v3, vcc_lo
	v_and_b32_e32 v10, 7, v3
	v_lshrrev_b32_e32 v3, 2, v3
	v_cmp_lt_i32_e32 vcc_lo, 5, v10
	v_cmp_eq_u32_e64 s0, 3, v10
	s_or_b32 vcc_lo, s0, vcc_lo
	v_add_co_ci_u32_e32 v3, vcc_lo, 0, v3, vcc_lo
	v_cmp_gt_i32_e32 vcc_lo, 31, v7
	v_cndmask_b32_e32 v3, 0x7c00, v3, vcc_lo
	v_cmp_ne_u32_e32 vcc_lo, 0, v0
	v_cndmask_b32_e64 v0, 0, 1, vcc_lo
	v_cmp_eq_u32_e32 vcc_lo, 0x40f, v7
	v_lshl_or_b32 v0, v0, 9, 0x7c00
	v_cndmask_b32_e32 v0, v3, v0, vcc_lo
	v_lshrrev_b32_e32 v3, 16, v8
	v_add_co_u32 v5, vcc_lo, v5, s6
	v_add_co_ci_u32_e32 v6, vcc_lo, s1, v6, vcc_lo
	v_and_or_b32 v0, 0x8000, v3, v0
	v_and_b32_e32 v3, 0xffff, v9
	v_lshl_or_b32 v0, v0, 16, v3
	global_store_dword v[5:6], v0, off
	v_lshrrev_b32_e32 v0, 16, v2
	v_mul_f16_sdwa v3, v114, v0 dst_sel:DWORD dst_unused:UNUSED_PAD src0_sel:WORD_1 src1_sel:DWORD
	v_fmac_f16_e32 v3, v114, v2
	v_mul_f16_sdwa v2, v114, v2 dst_sel:DWORD dst_unused:UNUSED_PAD src0_sel:WORD_1 src1_sel:DWORD
	v_cvt_f32_f16_e32 v3, v3
	v_fma_f16 v0, v114, v0, -v2
	v_cvt_f64_f32_e32 v[7:8], v3
	v_cvt_f32_f16_e32 v0, v0
	v_mul_f64 v[7:8], v[7:8], s[2:3]
	v_and_or_b32 v3, 0x1ff, v8, v7
	v_lshrrev_b32_e32 v7, 8, v8
	v_bfe_u32 v9, v8, 20, 11
	v_cmp_ne_u32_e32 vcc_lo, 0, v3
	v_sub_nc_u32_e32 v10, 0x3f1, v9
	v_add_nc_u32_e32 v9, 0xfffffc10, v9
	v_cndmask_b32_e64 v3, 0, 1, vcc_lo
	v_med3_i32 v10, v10, 0, 13
	v_and_or_b32 v3, 0xffe, v7, v3
	v_or_b32_e32 v7, 0x1000, v3
	v_lshrrev_b32_e32 v11, v10, v7
	v_lshlrev_b32_e32 v10, v10, v11
	v_cmp_ne_u32_e32 vcc_lo, v10, v7
	v_lshl_or_b32 v10, v9, 12, v3
	v_cndmask_b32_e64 v7, 0, 1, vcc_lo
	v_cmp_gt_i32_e32 vcc_lo, 1, v9
	v_or_b32_e32 v7, v11, v7
	v_cndmask_b32_e32 v7, v10, v7, vcc_lo
	v_and_b32_e32 v10, 7, v7
	v_lshrrev_b32_e32 v7, 2, v7
	v_cmp_lt_i32_e32 vcc_lo, 5, v10
	v_cmp_eq_u32_e64 s0, 3, v10
	s_or_b32 vcc_lo, s0, vcc_lo
	v_add_co_ci_u32_e32 v7, vcc_lo, 0, v7, vcc_lo
	v_cmp_gt_i32_e32 vcc_lo, 31, v9
	v_cndmask_b32_e32 v7, 0x7c00, v7, vcc_lo
	v_cmp_ne_u32_e32 vcc_lo, 0, v3
	v_cndmask_b32_e64 v3, 0, 1, vcc_lo
	v_cmp_eq_u32_e32 vcc_lo, 0x40f, v9
	v_lshl_or_b32 v3, v3, 9, 0x7c00
	v_cndmask_b32_e32 v3, v7, v3, vcc_lo
	v_lshrrev_b32_e32 v7, 16, v8
	v_and_or_b32 v7, 0x8000, v7, v3
	v_cvt_f64_f32_e32 v[2:3], v0
	v_mul_f64 v[2:3], v[2:3], s[2:3]
	v_and_or_b32 v0, 0x1ff, v3, v2
	v_lshrrev_b32_e32 v2, 8, v3
	v_bfe_u32 v8, v3, 20, 11
	v_cmp_ne_u32_e32 vcc_lo, 0, v0
	v_sub_nc_u32_e32 v9, 0x3f1, v8
	v_add_nc_u32_e32 v8, 0xfffffc10, v8
	v_cndmask_b32_e64 v0, 0, 1, vcc_lo
	v_med3_i32 v9, v9, 0, 13
	v_and_or_b32 v0, 0xffe, v2, v0
	v_or_b32_e32 v2, 0x1000, v0
	v_lshrrev_b32_e32 v10, v9, v2
	v_lshlrev_b32_e32 v9, v9, v10
	v_cmp_ne_u32_e32 vcc_lo, v9, v2
	v_lshl_or_b32 v9, v8, 12, v0
	v_cndmask_b32_e64 v2, 0, 1, vcc_lo
	v_cmp_gt_i32_e32 vcc_lo, 1, v8
	v_or_b32_e32 v2, v10, v2
	v_cndmask_b32_e32 v2, v9, v2, vcc_lo
	v_and_b32_e32 v9, 7, v2
	v_lshrrev_b32_e32 v2, 2, v2
	v_cmp_lt_i32_e32 vcc_lo, 5, v9
	v_cmp_eq_u32_e64 s0, 3, v9
	s_or_b32 vcc_lo, s0, vcc_lo
	v_add_co_ci_u32_e32 v2, vcc_lo, 0, v2, vcc_lo
	v_cmp_gt_i32_e32 vcc_lo, 31, v8
	v_cndmask_b32_e32 v2, 0x7c00, v2, vcc_lo
	v_cmp_ne_u32_e32 vcc_lo, 0, v0
	v_cndmask_b32_e64 v0, 0, 1, vcc_lo
	v_cmp_eq_u32_e32 vcc_lo, 0x40f, v8
	v_lshl_or_b32 v0, v0, 9, 0x7c00
	v_cndmask_b32_e32 v0, v2, v0, vcc_lo
	v_lshrrev_b32_e32 v2, 16, v3
	v_and_or_b32 v0, 0x8000, v2, v0
	v_and_b32_e32 v2, 0xffff, v7
	v_lshl_or_b32 v0, v0, 16, v2
	v_add_co_u32 v2, vcc_lo, v5, s4
	v_add_co_ci_u32_e32 v3, vcc_lo, s5, v6, vcc_lo
	global_store_dword v[2:3], v0, off
	v_lshrrev_b32_e32 v0, 16, v1
	v_mul_f16_sdwa v5, v113, v0 dst_sel:DWORD dst_unused:UNUSED_PAD src0_sel:WORD_1 src1_sel:DWORD
	v_fmac_f16_e32 v5, v113, v1
	v_mul_f16_sdwa v1, v113, v1 dst_sel:DWORD dst_unused:UNUSED_PAD src0_sel:WORD_1 src1_sel:DWORD
	v_cvt_f32_f16_e32 v5, v5
	v_fma_f16 v0, v113, v0, -v1
	v_cvt_f64_f32_e32 v[5:6], v5
	v_cvt_f32_f16_e32 v0, v0
	v_cvt_f64_f32_e32 v[0:1], v0
	v_mul_f64 v[5:6], v[5:6], s[2:3]
	v_mul_f64 v[0:1], v[0:1], s[2:3]
	v_and_or_b32 v5, 0x1ff, v6, v5
	v_lshrrev_b32_e32 v7, 8, v6
	v_bfe_u32 v8, v6, 20, 11
	v_lshrrev_b32_e32 v6, 16, v6
	v_cmp_ne_u32_e32 vcc_lo, 0, v5
	v_and_or_b32 v0, 0x1ff, v1, v0
	v_sub_nc_u32_e32 v9, 0x3f1, v8
	v_add_nc_u32_e32 v8, 0xfffffc10, v8
	v_cndmask_b32_e64 v5, 0, 1, vcc_lo
	v_med3_i32 v9, v9, 0, 13
	v_and_or_b32 v5, 0xffe, v7, v5
	v_or_b32_e32 v7, 0x1000, v5
	v_lshrrev_b32_e32 v10, v9, v7
	v_lshlrev_b32_e32 v9, v9, v10
	v_cmp_ne_u32_e32 vcc_lo, v9, v7
	v_lshl_or_b32 v9, v8, 12, v5
	v_cndmask_b32_e64 v7, 0, 1, vcc_lo
	v_cmp_gt_i32_e32 vcc_lo, 1, v8
	v_or_b32_e32 v7, v10, v7
	v_cndmask_b32_e32 v7, v9, v7, vcc_lo
	v_and_b32_e32 v9, 7, v7
	v_lshrrev_b32_e32 v7, 2, v7
	v_cmp_lt_i32_e32 vcc_lo, 5, v9
	v_cmp_eq_u32_e64 s0, 3, v9
	s_or_b32 vcc_lo, s0, vcc_lo
	v_add_co_ci_u32_e32 v7, vcc_lo, 0, v7, vcc_lo
	v_cmp_gt_i32_e32 vcc_lo, 31, v8
	v_cndmask_b32_e32 v7, 0x7c00, v7, vcc_lo
	v_cmp_ne_u32_e32 vcc_lo, 0, v5
	v_cndmask_b32_e64 v5, 0, 1, vcc_lo
	v_cmp_eq_u32_e32 vcc_lo, 0x40f, v8
	v_lshl_or_b32 v5, v5, 9, 0x7c00
	v_cndmask_b32_e32 v5, v7, v5, vcc_lo
	v_cmp_ne_u32_e32 vcc_lo, 0, v0
	v_bfe_u32 v7, v1, 20, 11
	v_and_or_b32 v5, 0x8000, v6, v5
	v_cndmask_b32_e64 v0, 0, 1, vcc_lo
	v_lshrrev_b32_e32 v6, 8, v1
	v_sub_nc_u32_e32 v8, 0x3f1, v7
	v_add_nc_u32_e32 v7, 0xfffffc10, v7
	v_lshrrev_b32_e32 v1, 16, v1
	v_and_or_b32 v0, 0xffe, v6, v0
	v_med3_i32 v8, v8, 0, 13
	v_or_b32_e32 v6, 0x1000, v0
	v_lshrrev_b32_e32 v9, v8, v6
	v_lshlrev_b32_e32 v8, v8, v9
	v_cmp_ne_u32_e32 vcc_lo, v8, v6
	v_lshl_or_b32 v8, v7, 12, v0
	v_cndmask_b32_e64 v6, 0, 1, vcc_lo
	v_cmp_gt_i32_e32 vcc_lo, 1, v7
	v_or_b32_e32 v6, v9, v6
	v_cndmask_b32_e32 v6, v8, v6, vcc_lo
	v_and_b32_e32 v8, 7, v6
	v_lshrrev_b32_e32 v6, 2, v6
	v_cmp_lt_i32_e32 vcc_lo, 5, v8
	v_cmp_eq_u32_e64 s0, 3, v8
	s_or_b32 vcc_lo, s0, vcc_lo
	v_add_co_ci_u32_e32 v6, vcc_lo, 0, v6, vcc_lo
	v_cmp_gt_i32_e32 vcc_lo, 31, v7
	v_cndmask_b32_e32 v6, 0x7c00, v6, vcc_lo
	v_cmp_ne_u32_e32 vcc_lo, 0, v0
	v_cndmask_b32_e64 v0, 0, 1, vcc_lo
	v_cmp_eq_u32_e32 vcc_lo, 0x40f, v7
	v_lshl_or_b32 v0, v0, 9, 0x7c00
	v_cndmask_b32_e32 v0, v6, v0, vcc_lo
	v_and_or_b32 v0, 0x8000, v1, v0
	v_and_b32_e32 v1, 0xffff, v5
	v_lshl_or_b32 v5, v0, 16, v1
	v_add_co_u32 v0, vcc_lo, v2, s6
	v_add_co_ci_u32_e32 v1, vcc_lo, s1, v3, vcc_lo
	global_store_dword v[0:1], v5, off
	v_lshrrev_b32_e32 v5, 16, v4
	v_mul_f16_sdwa v2, v112, v5 dst_sel:DWORD dst_unused:UNUSED_PAD src0_sel:WORD_1 src1_sel:DWORD
	v_fmac_f16_e32 v2, v112, v4
	v_cvt_f32_f16_e32 v2, v2
	v_cvt_f64_f32_e32 v[2:3], v2
	v_mul_f64 v[2:3], v[2:3], s[2:3]
	v_and_or_b32 v2, 0x1ff, v3, v2
	v_lshrrev_b32_e32 v6, 8, v3
	v_bfe_u32 v7, v3, 20, 11
	v_lshrrev_b32_e32 v3, 16, v3
	v_cmp_ne_u32_e32 vcc_lo, 0, v2
	v_sub_nc_u32_e32 v8, 0x3f1, v7
	v_add_nc_u32_e32 v7, 0xfffffc10, v7
	v_cndmask_b32_e64 v2, 0, 1, vcc_lo
	v_med3_i32 v8, v8, 0, 13
	v_and_or_b32 v2, 0xffe, v6, v2
	v_or_b32_e32 v6, 0x1000, v2
	v_lshrrev_b32_e32 v9, v8, v6
	v_lshlrev_b32_e32 v8, v8, v9
	v_cmp_ne_u32_e32 vcc_lo, v8, v6
	v_lshl_or_b32 v8, v7, 12, v2
	v_cndmask_b32_e64 v6, 0, 1, vcc_lo
	v_cmp_gt_i32_e32 vcc_lo, 1, v7
	v_or_b32_e32 v6, v9, v6
	v_cndmask_b32_e32 v6, v8, v6, vcc_lo
	v_and_b32_e32 v8, 7, v6
	v_lshrrev_b32_e32 v6, 2, v6
	v_cmp_lt_i32_e32 vcc_lo, 5, v8
	v_cmp_eq_u32_e64 s0, 3, v8
	s_or_b32 vcc_lo, s0, vcc_lo
	v_add_co_ci_u32_e32 v6, vcc_lo, 0, v6, vcc_lo
	v_cmp_gt_i32_e32 vcc_lo, 31, v7
	v_cndmask_b32_e32 v6, 0x7c00, v6, vcc_lo
	v_cmp_ne_u32_e32 vcc_lo, 0, v2
	v_cndmask_b32_e64 v2, 0, 1, vcc_lo
	v_cmp_eq_u32_e32 vcc_lo, 0x40f, v7
	v_lshl_or_b32 v2, v2, 9, 0x7c00
	v_cndmask_b32_e32 v2, v6, v2, vcc_lo
	v_and_or_b32 v6, 0x8000, v3, v2
	v_mul_f16_sdwa v2, v112, v4 dst_sel:DWORD dst_unused:UNUSED_PAD src0_sel:WORD_1 src1_sel:DWORD
	v_fma_f16 v2, v112, v5, -v2
	v_cvt_f32_f16_e32 v2, v2
	v_cvt_f64_f32_e32 v[2:3], v2
	v_mul_f64 v[2:3], v[2:3], s[2:3]
	v_and_or_b32 v2, 0x1ff, v3, v2
	v_lshrrev_b32_e32 v4, 8, v3
	v_bfe_u32 v5, v3, 20, 11
	v_lshrrev_b32_e32 v3, 16, v3
	v_cmp_ne_u32_e32 vcc_lo, 0, v2
	v_sub_nc_u32_e32 v7, 0x3f1, v5
	v_add_nc_u32_e32 v5, 0xfffffc10, v5
	v_cndmask_b32_e64 v2, 0, 1, vcc_lo
	v_med3_i32 v7, v7, 0, 13
	v_and_or_b32 v2, 0xffe, v4, v2
	v_or_b32_e32 v4, 0x1000, v2
	v_lshrrev_b32_e32 v8, v7, v4
	v_lshlrev_b32_e32 v7, v7, v8
	v_cmp_ne_u32_e32 vcc_lo, v7, v4
	v_lshl_or_b32 v7, v5, 12, v2
	v_cndmask_b32_e64 v4, 0, 1, vcc_lo
	v_cmp_gt_i32_e32 vcc_lo, 1, v5
	v_or_b32_e32 v4, v8, v4
	v_cndmask_b32_e32 v4, v7, v4, vcc_lo
	v_and_b32_e32 v7, 7, v4
	v_lshrrev_b32_e32 v4, 2, v4
	v_cmp_lt_i32_e32 vcc_lo, 5, v7
	v_cmp_eq_u32_e64 s0, 3, v7
	s_or_b32 vcc_lo, s0, vcc_lo
	v_add_co_ci_u32_e32 v4, vcc_lo, 0, v4, vcc_lo
	v_cmp_gt_i32_e32 vcc_lo, 31, v5
	v_cndmask_b32_e32 v4, 0x7c00, v4, vcc_lo
	v_cmp_ne_u32_e32 vcc_lo, 0, v2
	v_cndmask_b32_e64 v2, 0, 1, vcc_lo
	v_cmp_eq_u32_e32 vcc_lo, 0x40f, v5
	v_lshl_or_b32 v2, v2, 9, 0x7c00
	v_cndmask_b32_e32 v2, v4, v2, vcc_lo
	v_add_co_u32 v0, vcc_lo, v0, s6
	v_add_co_ci_u32_e32 v1, vcc_lo, s1, v1, vcc_lo
	v_and_or_b32 v2, 0x8000, v3, v2
	v_and_b32_e32 v3, 0xffff, v6
	v_lshl_or_b32 v2, v2, 16, v3
	global_store_dword v[0:1], v2, off
.LBB0_2:
	s_endpgm
	.section	.rodata,"a",@progbits
	.p2align	6, 0x0
	.amdhsa_kernel bluestein_single_back_len2700_dim1_half_op_CI_CI
		.amdhsa_group_segment_fixed_size 10800
		.amdhsa_private_segment_fixed_size 0
		.amdhsa_kernarg_size 104
		.amdhsa_user_sgpr_count 6
		.amdhsa_user_sgpr_private_segment_buffer 1
		.amdhsa_user_sgpr_dispatch_ptr 0
		.amdhsa_user_sgpr_queue_ptr 0
		.amdhsa_user_sgpr_kernarg_segment_ptr 1
		.amdhsa_user_sgpr_dispatch_id 0
		.amdhsa_user_sgpr_flat_scratch_init 0
		.amdhsa_user_sgpr_private_segment_size 0
		.amdhsa_wavefront_size32 1
		.amdhsa_uses_dynamic_stack 0
		.amdhsa_system_sgpr_private_segment_wavefront_offset 0
		.amdhsa_system_sgpr_workgroup_id_x 1
		.amdhsa_system_sgpr_workgroup_id_y 0
		.amdhsa_system_sgpr_workgroup_id_z 0
		.amdhsa_system_sgpr_workgroup_info 0
		.amdhsa_system_vgpr_workitem_id 0
		.amdhsa_next_free_vgpr 254
		.amdhsa_next_free_sgpr 16
		.amdhsa_reserve_vcc 1
		.amdhsa_reserve_flat_scratch 0
		.amdhsa_float_round_mode_32 0
		.amdhsa_float_round_mode_16_64 0
		.amdhsa_float_denorm_mode_32 3
		.amdhsa_float_denorm_mode_16_64 3
		.amdhsa_dx10_clamp 1
		.amdhsa_ieee_mode 1
		.amdhsa_fp16_overflow 0
		.amdhsa_workgroup_processor_mode 1
		.amdhsa_memory_ordered 1
		.amdhsa_forward_progress 0
		.amdhsa_shared_vgpr_count 0
		.amdhsa_exception_fp_ieee_invalid_op 0
		.amdhsa_exception_fp_denorm_src 0
		.amdhsa_exception_fp_ieee_div_zero 0
		.amdhsa_exception_fp_ieee_overflow 0
		.amdhsa_exception_fp_ieee_underflow 0
		.amdhsa_exception_fp_ieee_inexact 0
		.amdhsa_exception_int_div_zero 0
	.end_amdhsa_kernel
	.text
.Lfunc_end0:
	.size	bluestein_single_back_len2700_dim1_half_op_CI_CI, .Lfunc_end0-bluestein_single_back_len2700_dim1_half_op_CI_CI
                                        ; -- End function
	.section	.AMDGPU.csdata,"",@progbits
; Kernel info:
; codeLenInByte = 49668
; NumSgprs: 18
; NumVgprs: 254
; ScratchSize: 0
; MemoryBound: 0
; FloatMode: 240
; IeeeMode: 1
; LDSByteSize: 10800 bytes/workgroup (compile time only)
; SGPRBlocks: 2
; VGPRBlocks: 31
; NumSGPRsForWavesPerEU: 18
; NumVGPRsForWavesPerEU: 254
; Occupancy: 4
; WaveLimiterHint : 1
; COMPUTE_PGM_RSRC2:SCRATCH_EN: 0
; COMPUTE_PGM_RSRC2:USER_SGPR: 6
; COMPUTE_PGM_RSRC2:TRAP_HANDLER: 0
; COMPUTE_PGM_RSRC2:TGID_X_EN: 1
; COMPUTE_PGM_RSRC2:TGID_Y_EN: 0
; COMPUTE_PGM_RSRC2:TGID_Z_EN: 0
; COMPUTE_PGM_RSRC2:TIDIG_COMP_CNT: 0
	.text
	.p2alignl 6, 3214868480
	.fill 48, 4, 3214868480
	.type	__hip_cuid_624ac1e34e80575a,@object ; @__hip_cuid_624ac1e34e80575a
	.section	.bss,"aw",@nobits
	.globl	__hip_cuid_624ac1e34e80575a
__hip_cuid_624ac1e34e80575a:
	.byte	0                               ; 0x0
	.size	__hip_cuid_624ac1e34e80575a, 1

	.ident	"AMD clang version 19.0.0git (https://github.com/RadeonOpenCompute/llvm-project roc-6.4.0 25133 c7fe45cf4b819c5991fe208aaa96edf142730f1d)"
	.section	".note.GNU-stack","",@progbits
	.addrsig
	.addrsig_sym __hip_cuid_624ac1e34e80575a
	.amdgpu_metadata
---
amdhsa.kernels:
  - .args:
      - .actual_access:  read_only
        .address_space:  global
        .offset:         0
        .size:           8
        .value_kind:     global_buffer
      - .actual_access:  read_only
        .address_space:  global
        .offset:         8
        .size:           8
        .value_kind:     global_buffer
      - .actual_access:  read_only
        .address_space:  global
        .offset:         16
        .size:           8
        .value_kind:     global_buffer
      - .actual_access:  read_only
        .address_space:  global
        .offset:         24
        .size:           8
        .value_kind:     global_buffer
      - .actual_access:  read_only
        .address_space:  global
        .offset:         32
        .size:           8
        .value_kind:     global_buffer
      - .offset:         40
        .size:           8
        .value_kind:     by_value
      - .address_space:  global
        .offset:         48
        .size:           8
        .value_kind:     global_buffer
      - .address_space:  global
        .offset:         56
        .size:           8
        .value_kind:     global_buffer
      - .address_space:  global
        .offset:         64
        .size:           8
        .value_kind:     global_buffer
      - .address_space:  global
        .offset:         72
        .size:           8
        .value_kind:     global_buffer
      - .offset:         80
        .size:           4
        .value_kind:     by_value
      - .address_space:  global
        .offset:         88
        .size:           8
        .value_kind:     global_buffer
      - .address_space:  global
        .offset:         96
        .size:           8
        .value_kind:     global_buffer
    .group_segment_fixed_size: 10800
    .kernarg_segment_align: 8
    .kernarg_segment_size: 104
    .language:       OpenCL C
    .language_version:
      - 2
      - 0
    .max_flat_workgroup_size: 90
    .name:           bluestein_single_back_len2700_dim1_half_op_CI_CI
    .private_segment_fixed_size: 0
    .sgpr_count:     18
    .sgpr_spill_count: 0
    .symbol:         bluestein_single_back_len2700_dim1_half_op_CI_CI.kd
    .uniform_work_group_size: 1
    .uses_dynamic_stack: false
    .vgpr_count:     254
    .vgpr_spill_count: 0
    .wavefront_size: 32
    .workgroup_processor_mode: 1
amdhsa.target:   amdgcn-amd-amdhsa--gfx1030
amdhsa.version:
  - 1
  - 2
...

	.end_amdgpu_metadata
